;; amdgpu-corpus repo=llvm/llvm-project kind=harvested arch=n/a opt=n/a
// NOTE: Assertions have been autogenerated by utils/update_mc_test_checks.py UTC_ARGS: --version 6
// RUN: llvm-mc -triple=amdgcn -mcpu=gfx1310 -show-encoding %s | FileCheck --check-prefixes=GFX13 %s
// RUN: llvm-mc -triple=amdgcn -mcpu=gfx1310 -show-encoding %s | %extract-encodings | llvm-mc -triple=amdgcn -mcpu=gfx1310 -disassemble -show-encoding | FileCheck --strict-whitespace --check-prefixes=GFX13 %s

s_add_co_u32 s0, s0, s0
// GFX13: s_add_co_u32 s0, s0, s0                 ; encoding: [0x00,0x00,0x00,0x80]

s_add_co_u32 s105, s0, s0
// GFX13: s_add_co_u32 s105, s0, s0               ; encoding: [0x00,0x00,0x69,0x80]

s_add_co_u32 vcc_lo, s0, s0
// GFX13: s_add_co_u32 vcc_lo, s0, s0             ; encoding: [0x00,0x00,0x6a,0x80]

s_add_co_u32 exec_lo, s0, s0
// GFX13: s_add_co_u32 exec_lo, s0, s0            ; encoding: [0x00,0x00,0x7e,0x80]

s_add_co_u32 m0, s0, s0
// GFX13: s_add_co_u32 m0, s0, s0                 ; encoding: [0x00,0x00,0x7d,0x80]

s_add_co_u32 null, s0, s0
// GFX13: s_add_co_u32 null, s0, s0               ; encoding: [0x00,0x00,0x7c,0x80]

s_add_co_u32 s0, s105, s0
// GFX13: s_add_co_u32 s0, s105, s0               ; encoding: [0x69,0x00,0x00,0x80]

s_add_co_u32 s0, vcc_lo, s0
// GFX13: s_add_co_u32 s0, vcc_lo, s0             ; encoding: [0x6a,0x00,0x00,0x80]

s_add_co_u32 s0, exec_lo, s0
// GFX13: s_add_co_u32 s0, exec_lo, s0            ; encoding: [0x7e,0x00,0x00,0x80]

s_add_co_u32 s0, m0, s0
// GFX13: s_add_co_u32 s0, m0, s0                 ; encoding: [0x7d,0x00,0x00,0x80]

s_add_co_u32 s0, null, s0
// GFX13: s_add_co_u32 s0, null, s0               ; encoding: [0x7c,0x00,0x00,0x80]

s_add_co_u32 s0, 0, s0
// GFX13: s_add_co_u32 s0, 0, s0                  ; encoding: [0x80,0x00,0x00,0x80]

s_add_co_u32 s0, 0.5, s0
// GFX13: s_add_co_u32 s0, 0.5, s0                ; encoding: [0xf0,0x00,0x00,0x80]

s_add_co_u32 s0, 0x12345678, s0
// GFX13: s_add_co_u32 s0, 0x12345678, s0         ; encoding: [0xff,0x00,0x00,0x80,0x78,0x56,0x34,0x12]

s_add_co_u32 s0, s0, s105
// GFX13: s_add_co_u32 s0, s0, s105               ; encoding: [0x00,0x69,0x00,0x80]

s_add_co_u32 s0, s0, vcc_lo
// GFX13: s_add_co_u32 s0, s0, vcc_lo             ; encoding: [0x00,0x6a,0x00,0x80]

s_add_co_u32 s0, s0, exec_lo
// GFX13: s_add_co_u32 s0, s0, exec_lo            ; encoding: [0x00,0x7e,0x00,0x80]

s_add_co_u32 s0, s0, m0
// GFX13: s_add_co_u32 s0, s0, m0                 ; encoding: [0x00,0x7d,0x00,0x80]

s_add_co_u32 s0, s0, null
// GFX13: s_add_co_u32 s0, s0, null               ; encoding: [0x00,0x7c,0x00,0x80]

s_add_co_u32 s0, s0, 0
// GFX13: s_add_co_u32 s0, s0, 0                  ; encoding: [0x00,0x80,0x00,0x80]

s_add_co_u32 s0, s0, 0.5
// GFX13: s_add_co_u32 s0, s0, 0.5                ; encoding: [0x00,0xf0,0x00,0x80]

s_add_co_u32 s0, s0, 0x12345678
// GFX13: s_add_co_u32 s0, s0, 0x12345678         ; encoding: [0x00,0xff,0x00,0x80,0x78,0x56,0x34,0x12]

s_sub_co_u32 s0, s0, s0
// GFX13: s_sub_co_u32 s0, s0, s0                 ; encoding: [0x00,0x00,0x80,0x80]

s_sub_co_u32 s105, s0, s0
// GFX13: s_sub_co_u32 s105, s0, s0               ; encoding: [0x00,0x00,0xe9,0x80]

s_sub_co_u32 vcc_lo, s0, s0
// GFX13: s_sub_co_u32 vcc_lo, s0, s0             ; encoding: [0x00,0x00,0xea,0x80]

s_sub_co_u32 exec_lo, s0, s0
// GFX13: s_sub_co_u32 exec_lo, s0, s0            ; encoding: [0x00,0x00,0xfe,0x80]

s_sub_co_u32 m0, s0, s0
// GFX13: s_sub_co_u32 m0, s0, s0                 ; encoding: [0x00,0x00,0xfd,0x80]

s_sub_co_u32 null, s0, s0
// GFX13: s_sub_co_u32 null, s0, s0               ; encoding: [0x00,0x00,0xfc,0x80]

s_sub_co_u32 s0, s105, s0
// GFX13: s_sub_co_u32 s0, s105, s0               ; encoding: [0x69,0x00,0x80,0x80]

s_sub_co_u32 s0, vcc_lo, s0
// GFX13: s_sub_co_u32 s0, vcc_lo, s0             ; encoding: [0x6a,0x00,0x80,0x80]

s_sub_co_u32 s0, exec_lo, s0
// GFX13: s_sub_co_u32 s0, exec_lo, s0            ; encoding: [0x7e,0x00,0x80,0x80]

s_sub_co_u32 s0, m0, s0
// GFX13: s_sub_co_u32 s0, m0, s0                 ; encoding: [0x7d,0x00,0x80,0x80]

s_sub_co_u32 s0, null, s0
// GFX13: s_sub_co_u32 s0, null, s0               ; encoding: [0x7c,0x00,0x80,0x80]

s_sub_co_u32 s0, 0, s0
// GFX13: s_sub_co_u32 s0, 0, s0                  ; encoding: [0x80,0x00,0x80,0x80]

s_sub_co_u32 s0, 0.5, s0
// GFX13: s_sub_co_u32 s0, 0.5, s0                ; encoding: [0xf0,0x00,0x80,0x80]

s_sub_co_u32 s0, 0x12345678, s0
// GFX13: s_sub_co_u32 s0, 0x12345678, s0         ; encoding: [0xff,0x00,0x80,0x80,0x78,0x56,0x34,0x12]

s_sub_co_u32 s0, s0, s105
// GFX13: s_sub_co_u32 s0, s0, s105               ; encoding: [0x00,0x69,0x80,0x80]

s_sub_co_u32 s0, s0, vcc_lo
// GFX13: s_sub_co_u32 s0, s0, vcc_lo             ; encoding: [0x00,0x6a,0x80,0x80]

s_sub_co_u32 s0, s0, exec_lo
// GFX13: s_sub_co_u32 s0, s0, exec_lo            ; encoding: [0x00,0x7e,0x80,0x80]

s_sub_co_u32 s0, s0, m0
// GFX13: s_sub_co_u32 s0, s0, m0                 ; encoding: [0x00,0x7d,0x80,0x80]

s_sub_co_u32 s0, s0, null
// GFX13: s_sub_co_u32 s0, s0, null               ; encoding: [0x00,0x7c,0x80,0x80]

s_sub_co_u32 s0, s0, 0
// GFX13: s_sub_co_u32 s0, s0, 0                  ; encoding: [0x00,0x80,0x80,0x80]

s_sub_co_u32 s0, s0, 0.5
// GFX13: s_sub_co_u32 s0, s0, 0.5                ; encoding: [0x00,0xf0,0x80,0x80]

s_sub_co_u32 s0, s0, 0x12345678
// GFX13: s_sub_co_u32 s0, s0, 0x12345678         ; encoding: [0x00,0xff,0x80,0x80,0x78,0x56,0x34,0x12]

s_add_co_i32 s0, s0, s0
// GFX13: s_add_co_i32 s0, s0, s0                 ; encoding: [0x00,0x00,0x00,0x81]

s_add_co_i32 s105, s0, s0
// GFX13: s_add_co_i32 s105, s0, s0               ; encoding: [0x00,0x00,0x69,0x81]

s_add_co_i32 vcc_lo, s0, s0
// GFX13: s_add_co_i32 vcc_lo, s0, s0             ; encoding: [0x00,0x00,0x6a,0x81]

s_add_co_i32 exec_lo, s0, s0
// GFX13: s_add_co_i32 exec_lo, s0, s0            ; encoding: [0x00,0x00,0x7e,0x81]

s_add_co_i32 m0, s0, s0
// GFX13: s_add_co_i32 m0, s0, s0                 ; encoding: [0x00,0x00,0x7d,0x81]

s_add_co_i32 null, s0, s0
// GFX13: s_add_co_i32 null, s0, s0               ; encoding: [0x00,0x00,0x7c,0x81]

s_add_co_i32 s0, s105, s0
// GFX13: s_add_co_i32 s0, s105, s0               ; encoding: [0x69,0x00,0x00,0x81]

s_add_co_i32 s0, vcc_lo, s0
// GFX13: s_add_co_i32 s0, vcc_lo, s0             ; encoding: [0x6a,0x00,0x00,0x81]

s_add_co_i32 s0, exec_lo, s0
// GFX13: s_add_co_i32 s0, exec_lo, s0            ; encoding: [0x7e,0x00,0x00,0x81]

s_add_co_i32 s0, m0, s0
// GFX13: s_add_co_i32 s0, m0, s0                 ; encoding: [0x7d,0x00,0x00,0x81]

s_add_co_i32 s0, null, s0
// GFX13: s_add_co_i32 s0, null, s0               ; encoding: [0x7c,0x00,0x00,0x81]

s_add_co_i32 s0, 0, s0
// GFX13: s_add_co_i32 s0, 0, s0                  ; encoding: [0x80,0x00,0x00,0x81]

s_add_co_i32 s0, 0.5, s0
// GFX13: s_add_co_i32 s0, 0.5, s0                ; encoding: [0xf0,0x00,0x00,0x81]

s_add_co_i32 s0, 0x12345678, s0
// GFX13: s_add_co_i32 s0, 0x12345678, s0         ; encoding: [0xff,0x00,0x00,0x81,0x78,0x56,0x34,0x12]

s_add_co_i32 s0, s0, s105
// GFX13: s_add_co_i32 s0, s0, s105               ; encoding: [0x00,0x69,0x00,0x81]

s_add_co_i32 s0, s0, vcc_lo
// GFX13: s_add_co_i32 s0, s0, vcc_lo             ; encoding: [0x00,0x6a,0x00,0x81]

s_add_co_i32 s0, s0, exec_lo
// GFX13: s_add_co_i32 s0, s0, exec_lo            ; encoding: [0x00,0x7e,0x00,0x81]

s_add_co_i32 s0, s0, m0
// GFX13: s_add_co_i32 s0, s0, m0                 ; encoding: [0x00,0x7d,0x00,0x81]

s_add_co_i32 s0, s0, null
// GFX13: s_add_co_i32 s0, s0, null               ; encoding: [0x00,0x7c,0x00,0x81]

s_add_co_i32 s0, s0, 0
// GFX13: s_add_co_i32 s0, s0, 0                  ; encoding: [0x00,0x80,0x00,0x81]

s_add_co_i32 s0, s0, 0.5
// GFX13: s_add_co_i32 s0, s0, 0.5                ; encoding: [0x00,0xf0,0x00,0x81]

s_add_co_i32 s0, s0, 0x12345678
// GFX13: s_add_co_i32 s0, s0, 0x12345678         ; encoding: [0x00,0xff,0x00,0x81,0x78,0x56,0x34,0x12]

s_sub_co_i32 s0, s0, s0
// GFX13: s_sub_co_i32 s0, s0, s0                 ; encoding: [0x00,0x00,0x80,0x81]

s_sub_co_i32 s105, s0, s0
// GFX13: s_sub_co_i32 s105, s0, s0               ; encoding: [0x00,0x00,0xe9,0x81]

s_sub_co_i32 vcc_lo, s0, s0
// GFX13: s_sub_co_i32 vcc_lo, s0, s0             ; encoding: [0x00,0x00,0xea,0x81]

s_sub_co_i32 exec_lo, s0, s0
// GFX13: s_sub_co_i32 exec_lo, s0, s0            ; encoding: [0x00,0x00,0xfe,0x81]

s_sub_co_i32 m0, s0, s0
// GFX13: s_sub_co_i32 m0, s0, s0                 ; encoding: [0x00,0x00,0xfd,0x81]

s_sub_co_i32 null, s0, s0
// GFX13: s_sub_co_i32 null, s0, s0               ; encoding: [0x00,0x00,0xfc,0x81]

s_sub_co_i32 s0, s105, s0
// GFX13: s_sub_co_i32 s0, s105, s0               ; encoding: [0x69,0x00,0x80,0x81]

s_sub_co_i32 s0, vcc_lo, s0
// GFX13: s_sub_co_i32 s0, vcc_lo, s0             ; encoding: [0x6a,0x00,0x80,0x81]

s_sub_co_i32 s0, exec_lo, s0
// GFX13: s_sub_co_i32 s0, exec_lo, s0            ; encoding: [0x7e,0x00,0x80,0x81]

s_sub_co_i32 s0, m0, s0
// GFX13: s_sub_co_i32 s0, m0, s0                 ; encoding: [0x7d,0x00,0x80,0x81]

s_sub_co_i32 s0, null, s0
// GFX13: s_sub_co_i32 s0, null, s0               ; encoding: [0x7c,0x00,0x80,0x81]

s_sub_co_i32 s0, 0, s0
// GFX13: s_sub_co_i32 s0, 0, s0                  ; encoding: [0x80,0x00,0x80,0x81]

s_sub_co_i32 s0, 0.5, s0
// GFX13: s_sub_co_i32 s0, 0.5, s0                ; encoding: [0xf0,0x00,0x80,0x81]

s_sub_co_i32 s0, 0x12345678, s0
// GFX13: s_sub_co_i32 s0, 0x12345678, s0         ; encoding: [0xff,0x00,0x80,0x81,0x78,0x56,0x34,0x12]

s_sub_co_i32 s0, s0, s105
// GFX13: s_sub_co_i32 s0, s0, s105               ; encoding: [0x00,0x69,0x80,0x81]

s_sub_co_i32 s0, s0, vcc_lo
// GFX13: s_sub_co_i32 s0, s0, vcc_lo             ; encoding: [0x00,0x6a,0x80,0x81]

s_sub_co_i32 s0, s0, exec_lo
// GFX13: s_sub_co_i32 s0, s0, exec_lo            ; encoding: [0x00,0x7e,0x80,0x81]

s_sub_co_i32 s0, s0, m0
// GFX13: s_sub_co_i32 s0, s0, m0                 ; encoding: [0x00,0x7d,0x80,0x81]

s_sub_co_i32 s0, s0, null
// GFX13: s_sub_co_i32 s0, s0, null               ; encoding: [0x00,0x7c,0x80,0x81]

s_sub_co_i32 s0, s0, 0
// GFX13: s_sub_co_i32 s0, s0, 0                  ; encoding: [0x00,0x80,0x80,0x81]

s_sub_co_i32 s0, s0, 0.5
// GFX13: s_sub_co_i32 s0, s0, 0.5                ; encoding: [0x00,0xf0,0x80,0x81]

s_sub_co_i32 s0, s0, 0x12345678
// GFX13: s_sub_co_i32 s0, s0, 0x12345678         ; encoding: [0x00,0xff,0x80,0x81,0x78,0x56,0x34,0x12]

s_add_co_ci_u32 s0, s0, s0
// GFX13: s_add_co_ci_u32 s0, s0, s0              ; encoding: [0x00,0x00,0x00,0x82]

s_add_co_ci_u32 s105, s0, s0
// GFX13: s_add_co_ci_u32 s105, s0, s0            ; encoding: [0x00,0x00,0x69,0x82]

s_add_co_ci_u32 vcc_lo, s0, s0
// GFX13: s_add_co_ci_u32 vcc_lo, s0, s0          ; encoding: [0x00,0x00,0x6a,0x82]

s_add_co_ci_u32 exec_lo, s0, s0
// GFX13: s_add_co_ci_u32 exec_lo, s0, s0         ; encoding: [0x00,0x00,0x7e,0x82]

s_add_co_ci_u32 m0, s0, s0
// GFX13: s_add_co_ci_u32 m0, s0, s0              ; encoding: [0x00,0x00,0x7d,0x82]

s_add_co_ci_u32 null, s0, s0
// GFX13: s_add_co_ci_u32 null, s0, s0            ; encoding: [0x00,0x00,0x7c,0x82]

s_add_co_ci_u32 s0, s105, s0
// GFX13: s_add_co_ci_u32 s0, s105, s0            ; encoding: [0x69,0x00,0x00,0x82]

s_add_co_ci_u32 s0, vcc_lo, s0
// GFX13: s_add_co_ci_u32 s0, vcc_lo, s0          ; encoding: [0x6a,0x00,0x00,0x82]

s_add_co_ci_u32 s0, exec_lo, s0
// GFX13: s_add_co_ci_u32 s0, exec_lo, s0         ; encoding: [0x7e,0x00,0x00,0x82]

s_add_co_ci_u32 s0, m0, s0
// GFX13: s_add_co_ci_u32 s0, m0, s0              ; encoding: [0x7d,0x00,0x00,0x82]

s_add_co_ci_u32 s0, null, s0
// GFX13: s_add_co_ci_u32 s0, null, s0            ; encoding: [0x7c,0x00,0x00,0x82]

s_add_co_ci_u32 s0, 0, s0
// GFX13: s_add_co_ci_u32 s0, 0, s0               ; encoding: [0x80,0x00,0x00,0x82]

s_add_co_ci_u32 s0, 0.5, s0
// GFX13: s_add_co_ci_u32 s0, 0.5, s0             ; encoding: [0xf0,0x00,0x00,0x82]

s_add_co_ci_u32 s0, 0x12345678, s0
// GFX13: s_add_co_ci_u32 s0, 0x12345678, s0      ; encoding: [0xff,0x00,0x00,0x82,0x78,0x56,0x34,0x12]

s_add_co_ci_u32 s0, s0, s105
// GFX13: s_add_co_ci_u32 s0, s0, s105            ; encoding: [0x00,0x69,0x00,0x82]

s_add_co_ci_u32 s0, s0, vcc_lo
// GFX13: s_add_co_ci_u32 s0, s0, vcc_lo          ; encoding: [0x00,0x6a,0x00,0x82]

s_add_co_ci_u32 s0, s0, exec_lo
// GFX13: s_add_co_ci_u32 s0, s0, exec_lo         ; encoding: [0x00,0x7e,0x00,0x82]

s_add_co_ci_u32 s0, s0, m0
// GFX13: s_add_co_ci_u32 s0, s0, m0              ; encoding: [0x00,0x7d,0x00,0x82]

s_add_co_ci_u32 s0, s0, null
// GFX13: s_add_co_ci_u32 s0, s0, null            ; encoding: [0x00,0x7c,0x00,0x82]

s_add_co_ci_u32 s0, s0, 0
// GFX13: s_add_co_ci_u32 s0, s0, 0               ; encoding: [0x00,0x80,0x00,0x82]

s_add_co_ci_u32 s0, s0, 0.5
// GFX13: s_add_co_ci_u32 s0, s0, 0.5             ; encoding: [0x00,0xf0,0x00,0x82]

s_add_co_ci_u32 s0, s0, 0x12345678
// GFX13: s_add_co_ci_u32 s0, s0, 0x12345678      ; encoding: [0x00,0xff,0x00,0x82,0x78,0x56,0x34,0x12]

s_sub_co_ci_u32 s0, s0, s0
// GFX13: s_sub_co_ci_u32 s0, s0, s0              ; encoding: [0x00,0x00,0x80,0x82]

s_sub_co_ci_u32 s105, s0, s0
// GFX13: s_sub_co_ci_u32 s105, s0, s0            ; encoding: [0x00,0x00,0xe9,0x82]

s_sub_co_ci_u32 vcc_lo, s0, s0
// GFX13: s_sub_co_ci_u32 vcc_lo, s0, s0          ; encoding: [0x00,0x00,0xea,0x82]

s_sub_co_ci_u32 exec_lo, s0, s0
// GFX13: s_sub_co_ci_u32 exec_lo, s0, s0         ; encoding: [0x00,0x00,0xfe,0x82]

s_sub_co_ci_u32 m0, s0, s0
// GFX13: s_sub_co_ci_u32 m0, s0, s0              ; encoding: [0x00,0x00,0xfd,0x82]

s_sub_co_ci_u32 null, s0, s0
// GFX13: s_sub_co_ci_u32 null, s0, s0            ; encoding: [0x00,0x00,0xfc,0x82]

s_sub_co_ci_u32 s0, s105, s0
// GFX13: s_sub_co_ci_u32 s0, s105, s0            ; encoding: [0x69,0x00,0x80,0x82]

s_sub_co_ci_u32 s0, vcc_lo, s0
// GFX13: s_sub_co_ci_u32 s0, vcc_lo, s0          ; encoding: [0x6a,0x00,0x80,0x82]

s_sub_co_ci_u32 s0, exec_lo, s0
// GFX13: s_sub_co_ci_u32 s0, exec_lo, s0         ; encoding: [0x7e,0x00,0x80,0x82]

s_sub_co_ci_u32 s0, m0, s0
// GFX13: s_sub_co_ci_u32 s0, m0, s0              ; encoding: [0x7d,0x00,0x80,0x82]

s_sub_co_ci_u32 s0, null, s0
// GFX13: s_sub_co_ci_u32 s0, null, s0            ; encoding: [0x7c,0x00,0x80,0x82]

s_sub_co_ci_u32 s0, 0, s0
// GFX13: s_sub_co_ci_u32 s0, 0, s0               ; encoding: [0x80,0x00,0x80,0x82]

s_sub_co_ci_u32 s0, 0.5, s0
// GFX13: s_sub_co_ci_u32 s0, 0.5, s0             ; encoding: [0xf0,0x00,0x80,0x82]

s_sub_co_ci_u32 s0, 0x12345678, s0
// GFX13: s_sub_co_ci_u32 s0, 0x12345678, s0      ; encoding: [0xff,0x00,0x80,0x82,0x78,0x56,0x34,0x12]

s_sub_co_ci_u32 s0, s0, s105
// GFX13: s_sub_co_ci_u32 s0, s0, s105            ; encoding: [0x00,0x69,0x80,0x82]

s_sub_co_ci_u32 s0, s0, vcc_lo
// GFX13: s_sub_co_ci_u32 s0, s0, vcc_lo          ; encoding: [0x00,0x6a,0x80,0x82]

s_sub_co_ci_u32 s0, s0, exec_lo
// GFX13: s_sub_co_ci_u32 s0, s0, exec_lo         ; encoding: [0x00,0x7e,0x80,0x82]

s_sub_co_ci_u32 s0, s0, m0
// GFX13: s_sub_co_ci_u32 s0, s0, m0              ; encoding: [0x00,0x7d,0x80,0x82]

s_sub_co_ci_u32 s0, s0, null
// GFX13: s_sub_co_ci_u32 s0, s0, null            ; encoding: [0x00,0x7c,0x80,0x82]

s_sub_co_ci_u32 s0, s0, 0
// GFX13: s_sub_co_ci_u32 s0, s0, 0               ; encoding: [0x00,0x80,0x80,0x82]

s_sub_co_ci_u32 s0, s0, 0.5
// GFX13: s_sub_co_ci_u32 s0, s0, 0.5             ; encoding: [0x00,0xf0,0x80,0x82]

s_sub_co_ci_u32 s0, s0, 0x12345678
// GFX13: s_sub_co_ci_u32 s0, s0, 0x12345678      ; encoding: [0x00,0xff,0x80,0x82,0x78,0x56,0x34,0x12]

s_min_i32 s0, s0, s0
// GFX13: s_min_i32 s0, s0, s0                    ; encoding: [0x00,0x00,0x00,0x83]

s_min_i32 s105, s0, s0
// GFX13: s_min_i32 s105, s0, s0                  ; encoding: [0x00,0x00,0x69,0x83]

s_min_i32 vcc_lo, s0, s0
// GFX13: s_min_i32 vcc_lo, s0, s0                ; encoding: [0x00,0x00,0x6a,0x83]

s_min_i32 exec_lo, s0, s0
// GFX13: s_min_i32 exec_lo, s0, s0               ; encoding: [0x00,0x00,0x7e,0x83]

s_min_i32 m0, s0, s0
// GFX13: s_min_i32 m0, s0, s0                    ; encoding: [0x00,0x00,0x7d,0x83]

s_min_i32 null, s0, s0
// GFX13: s_min_i32 null, s0, s0                  ; encoding: [0x00,0x00,0x7c,0x83]

s_min_i32 s0, s105, s0
// GFX13: s_min_i32 s0, s105, s0                  ; encoding: [0x69,0x00,0x00,0x83]

s_min_i32 s0, vcc_lo, s0
// GFX13: s_min_i32 s0, vcc_lo, s0                ; encoding: [0x6a,0x00,0x00,0x83]

s_min_i32 s0, exec_lo, s0
// GFX13: s_min_i32 s0, exec_lo, s0               ; encoding: [0x7e,0x00,0x00,0x83]

s_min_i32 s0, m0, s0
// GFX13: s_min_i32 s0, m0, s0                    ; encoding: [0x7d,0x00,0x00,0x83]

s_min_i32 s0, null, s0
// GFX13: s_min_i32 s0, null, s0                  ; encoding: [0x7c,0x00,0x00,0x83]

s_min_i32 s0, 0, s0
// GFX13: s_min_i32 s0, 0, s0                     ; encoding: [0x80,0x00,0x00,0x83]

s_min_i32 s0, 0.5, s0
// GFX13: s_min_i32 s0, 0.5, s0                   ; encoding: [0xf0,0x00,0x00,0x83]

s_min_i32 s0, 0x12345678, s0
// GFX13: s_min_i32 s0, 0x12345678, s0            ; encoding: [0xff,0x00,0x00,0x83,0x78,0x56,0x34,0x12]

s_min_i32 s0, s0, s105
// GFX13: s_min_i32 s0, s0, s105                  ; encoding: [0x00,0x69,0x00,0x83]

s_min_i32 s0, s0, vcc_lo
// GFX13: s_min_i32 s0, s0, vcc_lo                ; encoding: [0x00,0x6a,0x00,0x83]

s_min_i32 s0, s0, exec_lo
// GFX13: s_min_i32 s0, s0, exec_lo               ; encoding: [0x00,0x7e,0x00,0x83]

s_min_i32 s0, s0, m0
// GFX13: s_min_i32 s0, s0, m0                    ; encoding: [0x00,0x7d,0x00,0x83]

s_min_i32 s0, s0, null
// GFX13: s_min_i32 s0, s0, null                  ; encoding: [0x00,0x7c,0x00,0x83]

s_min_i32 s0, s0, 0
// GFX13: s_min_i32 s0, s0, 0                     ; encoding: [0x00,0x80,0x00,0x83]

s_min_i32 s0, s0, 0.5
// GFX13: s_min_i32 s0, s0, 0.5                   ; encoding: [0x00,0xf0,0x00,0x83]

s_min_i32 s0, s0, 0x12345678
// GFX13: s_min_i32 s0, s0, 0x12345678            ; encoding: [0x00,0xff,0x00,0x83,0x78,0x56,0x34,0x12]

s_min_u32 s0, s0, s0
// GFX13: s_min_u32 s0, s0, s0                    ; encoding: [0x00,0x00,0x80,0x83]

s_min_u32 s105, s0, s0
// GFX13: s_min_u32 s105, s0, s0                  ; encoding: [0x00,0x00,0xe9,0x83]

s_min_u32 vcc_lo, s0, s0
// GFX13: s_min_u32 vcc_lo, s0, s0                ; encoding: [0x00,0x00,0xea,0x83]

s_min_u32 exec_lo, s0, s0
// GFX13: s_min_u32 exec_lo, s0, s0               ; encoding: [0x00,0x00,0xfe,0x83]

s_min_u32 m0, s0, s0
// GFX13: s_min_u32 m0, s0, s0                    ; encoding: [0x00,0x00,0xfd,0x83]

s_min_u32 null, s0, s0
// GFX13: s_min_u32 null, s0, s0                  ; encoding: [0x00,0x00,0xfc,0x83]

s_min_u32 s0, s105, s0
// GFX13: s_min_u32 s0, s105, s0                  ; encoding: [0x69,0x00,0x80,0x83]

s_min_u32 s0, vcc_lo, s0
// GFX13: s_min_u32 s0, vcc_lo, s0                ; encoding: [0x6a,0x00,0x80,0x83]

s_min_u32 s0, exec_lo, s0
// GFX13: s_min_u32 s0, exec_lo, s0               ; encoding: [0x7e,0x00,0x80,0x83]

s_min_u32 s0, m0, s0
// GFX13: s_min_u32 s0, m0, s0                    ; encoding: [0x7d,0x00,0x80,0x83]

s_min_u32 s0, null, s0
// GFX13: s_min_u32 s0, null, s0                  ; encoding: [0x7c,0x00,0x80,0x83]

s_min_u32 s0, 0, s0
// GFX13: s_min_u32 s0, 0, s0                     ; encoding: [0x80,0x00,0x80,0x83]

s_min_u32 s0, 0.5, s0
// GFX13: s_min_u32 s0, 0.5, s0                   ; encoding: [0xf0,0x00,0x80,0x83]

s_min_u32 s0, 0x12345678, s0
// GFX13: s_min_u32 s0, 0x12345678, s0            ; encoding: [0xff,0x00,0x80,0x83,0x78,0x56,0x34,0x12]

s_min_u32 s0, s0, s105
// GFX13: s_min_u32 s0, s0, s105                  ; encoding: [0x00,0x69,0x80,0x83]

s_min_u32 s0, s0, vcc_lo
// GFX13: s_min_u32 s0, s0, vcc_lo                ; encoding: [0x00,0x6a,0x80,0x83]

s_min_u32 s0, s0, exec_lo
// GFX13: s_min_u32 s0, s0, exec_lo               ; encoding: [0x00,0x7e,0x80,0x83]

s_min_u32 s0, s0, m0
// GFX13: s_min_u32 s0, s0, m0                    ; encoding: [0x00,0x7d,0x80,0x83]

s_min_u32 s0, s0, null
// GFX13: s_min_u32 s0, s0, null                  ; encoding: [0x00,0x7c,0x80,0x83]

s_min_u32 s0, s0, 0
// GFX13: s_min_u32 s0, s0, 0                     ; encoding: [0x00,0x80,0x80,0x83]

s_min_u32 s0, s0, 0.5
// GFX13: s_min_u32 s0, s0, 0.5                   ; encoding: [0x00,0xf0,0x80,0x83]

s_min_u32 s0, s0, 0x12345678
// GFX13: s_min_u32 s0, s0, 0x12345678            ; encoding: [0x00,0xff,0x80,0x83,0x78,0x56,0x34,0x12]

s_max_i32 s0, s0, s0
// GFX13: s_max_i32 s0, s0, s0                    ; encoding: [0x00,0x00,0x00,0x84]

s_max_i32 s105, s0, s0
// GFX13: s_max_i32 s105, s0, s0                  ; encoding: [0x00,0x00,0x69,0x84]

s_max_i32 vcc_lo, s0, s0
// GFX13: s_max_i32 vcc_lo, s0, s0                ; encoding: [0x00,0x00,0x6a,0x84]

s_max_i32 exec_lo, s0, s0
// GFX13: s_max_i32 exec_lo, s0, s0               ; encoding: [0x00,0x00,0x7e,0x84]

s_max_i32 m0, s0, s0
// GFX13: s_max_i32 m0, s0, s0                    ; encoding: [0x00,0x00,0x7d,0x84]

s_max_i32 null, s0, s0
// GFX13: s_max_i32 null, s0, s0                  ; encoding: [0x00,0x00,0x7c,0x84]

s_max_i32 s0, s105, s0
// GFX13: s_max_i32 s0, s105, s0                  ; encoding: [0x69,0x00,0x00,0x84]

s_max_i32 s0, vcc_lo, s0
// GFX13: s_max_i32 s0, vcc_lo, s0                ; encoding: [0x6a,0x00,0x00,0x84]

s_max_i32 s0, exec_lo, s0
// GFX13: s_max_i32 s0, exec_lo, s0               ; encoding: [0x7e,0x00,0x00,0x84]

s_max_i32 s0, m0, s0
// GFX13: s_max_i32 s0, m0, s0                    ; encoding: [0x7d,0x00,0x00,0x84]

s_max_i32 s0, null, s0
// GFX13: s_max_i32 s0, null, s0                  ; encoding: [0x7c,0x00,0x00,0x84]

s_max_i32 s0, 0, s0
// GFX13: s_max_i32 s0, 0, s0                     ; encoding: [0x80,0x00,0x00,0x84]

s_max_i32 s0, 0.5, s0
// GFX13: s_max_i32 s0, 0.5, s0                   ; encoding: [0xf0,0x00,0x00,0x84]

s_max_i32 s0, 0x12345678, s0
// GFX13: s_max_i32 s0, 0x12345678, s0            ; encoding: [0xff,0x00,0x00,0x84,0x78,0x56,0x34,0x12]

s_max_i32 s0, s0, s105
// GFX13: s_max_i32 s0, s0, s105                  ; encoding: [0x00,0x69,0x00,0x84]

s_max_i32 s0, s0, vcc_lo
// GFX13: s_max_i32 s0, s0, vcc_lo                ; encoding: [0x00,0x6a,0x00,0x84]

s_max_i32 s0, s0, exec_lo
// GFX13: s_max_i32 s0, s0, exec_lo               ; encoding: [0x00,0x7e,0x00,0x84]

s_max_i32 s0, s0, m0
// GFX13: s_max_i32 s0, s0, m0                    ; encoding: [0x00,0x7d,0x00,0x84]

s_max_i32 s0, s0, null
// GFX13: s_max_i32 s0, s0, null                  ; encoding: [0x00,0x7c,0x00,0x84]

s_max_i32 s0, s0, 0
// GFX13: s_max_i32 s0, s0, 0                     ; encoding: [0x00,0x80,0x00,0x84]

s_max_i32 s0, s0, 0.5
// GFX13: s_max_i32 s0, s0, 0.5                   ; encoding: [0x00,0xf0,0x00,0x84]

s_max_i32 s0, s0, 0x12345678
// GFX13: s_max_i32 s0, s0, 0x12345678            ; encoding: [0x00,0xff,0x00,0x84,0x78,0x56,0x34,0x12]

s_max_u32 s0, s0, s0
// GFX13: s_max_u32 s0, s0, s0                    ; encoding: [0x00,0x00,0x80,0x84]

s_max_u32 s105, s0, s0
// GFX13: s_max_u32 s105, s0, s0                  ; encoding: [0x00,0x00,0xe9,0x84]

s_max_u32 vcc_lo, s0, s0
// GFX13: s_max_u32 vcc_lo, s0, s0                ; encoding: [0x00,0x00,0xea,0x84]

s_max_u32 exec_lo, s0, s0
// GFX13: s_max_u32 exec_lo, s0, s0               ; encoding: [0x00,0x00,0xfe,0x84]

s_max_u32 m0, s0, s0
// GFX13: s_max_u32 m0, s0, s0                    ; encoding: [0x00,0x00,0xfd,0x84]

s_max_u32 null, s0, s0
// GFX13: s_max_u32 null, s0, s0                  ; encoding: [0x00,0x00,0xfc,0x84]

s_max_u32 s0, s105, s0
// GFX13: s_max_u32 s0, s105, s0                  ; encoding: [0x69,0x00,0x80,0x84]

s_max_u32 s0, vcc_lo, s0
// GFX13: s_max_u32 s0, vcc_lo, s0                ; encoding: [0x6a,0x00,0x80,0x84]

s_max_u32 s0, exec_lo, s0
// GFX13: s_max_u32 s0, exec_lo, s0               ; encoding: [0x7e,0x00,0x80,0x84]

s_max_u32 s0, m0, s0
// GFX13: s_max_u32 s0, m0, s0                    ; encoding: [0x7d,0x00,0x80,0x84]

s_max_u32 s0, null, s0
// GFX13: s_max_u32 s0, null, s0                  ; encoding: [0x7c,0x00,0x80,0x84]

s_max_u32 s0, 0, s0
// GFX13: s_max_u32 s0, 0, s0                     ; encoding: [0x80,0x00,0x80,0x84]

s_max_u32 s0, 0.5, s0
// GFX13: s_max_u32 s0, 0.5, s0                   ; encoding: [0xf0,0x00,0x80,0x84]

s_max_u32 s0, 0x12345678, s0
// GFX13: s_max_u32 s0, 0x12345678, s0            ; encoding: [0xff,0x00,0x80,0x84,0x78,0x56,0x34,0x12]

s_max_u32 s0, s0, s105
// GFX13: s_max_u32 s0, s0, s105                  ; encoding: [0x00,0x69,0x80,0x84]

s_max_u32 s0, s0, vcc_lo
// GFX13: s_max_u32 s0, s0, vcc_lo                ; encoding: [0x00,0x6a,0x80,0x84]

s_max_u32 s0, s0, exec_lo
// GFX13: s_max_u32 s0, s0, exec_lo               ; encoding: [0x00,0x7e,0x80,0x84]

s_max_u32 s0, s0, m0
// GFX13: s_max_u32 s0, s0, m0                    ; encoding: [0x00,0x7d,0x80,0x84]

s_max_u32 s0, s0, null
// GFX13: s_max_u32 s0, s0, null                  ; encoding: [0x00,0x7c,0x80,0x84]

s_max_u32 s0, s0, 0
// GFX13: s_max_u32 s0, s0, 0                     ; encoding: [0x00,0x80,0x80,0x84]

s_max_u32 s0, s0, 0.5
// GFX13: s_max_u32 s0, s0, 0.5                   ; encoding: [0x00,0xf0,0x80,0x84]

s_max_u32 s0, s0, 0x12345678
// GFX13: s_max_u32 s0, s0, 0x12345678            ; encoding: [0x00,0xff,0x80,0x84,0x78,0x56,0x34,0x12]

s_cselect_b32 s0, s0, s0
// GFX13: s_cselect_b32 s0, s0, s0                ; encoding: [0x00,0x00,0x00,0x85]

s_cselect_b32 s105, s0, s0
// GFX13: s_cselect_b32 s105, s0, s0              ; encoding: [0x00,0x00,0x69,0x85]

s_cselect_b32 vcc_lo, s0, s0
// GFX13: s_cselect_b32 vcc_lo, s0, s0            ; encoding: [0x00,0x00,0x6a,0x85]

s_cselect_b32 exec_lo, s0, s0
// GFX13: s_cselect_b32 exec_lo, s0, s0           ; encoding: [0x00,0x00,0x7e,0x85]

s_cselect_b32 m0, s0, s0
// GFX13: s_cselect_b32 m0, s0, s0                ; encoding: [0x00,0x00,0x7d,0x85]

s_cselect_b32 null, s0, s0
// GFX13: s_cselect_b32 null, s0, s0              ; encoding: [0x00,0x00,0x7c,0x85]

s_cselect_b32 s0, s105, s0
// GFX13: s_cselect_b32 s0, s105, s0              ; encoding: [0x69,0x00,0x00,0x85]

s_cselect_b32 s0, vcc_lo, s0
// GFX13: s_cselect_b32 s0, vcc_lo, s0            ; encoding: [0x6a,0x00,0x00,0x85]

s_cselect_b32 s0, exec_lo, s0
// GFX13: s_cselect_b32 s0, exec_lo, s0           ; encoding: [0x7e,0x00,0x00,0x85]

s_cselect_b32 s0, m0, s0
// GFX13: s_cselect_b32 s0, m0, s0                ; encoding: [0x7d,0x00,0x00,0x85]

s_cselect_b32 s0, null, s0
// GFX13: s_cselect_b32 s0, null, s0              ; encoding: [0x7c,0x00,0x00,0x85]

s_cselect_b32 s0, 0, s0
// GFX13: s_cselect_b32 s0, 0, s0                 ; encoding: [0x80,0x00,0x00,0x85]

s_cselect_b32 s0, 0.5, s0
// GFX13: s_cselect_b32 s0, 0.5, s0               ; encoding: [0xf0,0x00,0x00,0x85]

s_cselect_b32 s0, 0x12345678, s0
// GFX13: s_cselect_b32 s0, 0x12345678, s0        ; encoding: [0xff,0x00,0x00,0x85,0x78,0x56,0x34,0x12]

s_cselect_b32 s0, s0, s105
// GFX13: s_cselect_b32 s0, s0, s105              ; encoding: [0x00,0x69,0x00,0x85]

s_cselect_b32 s0, s0, vcc_lo
// GFX13: s_cselect_b32 s0, s0, vcc_lo            ; encoding: [0x00,0x6a,0x00,0x85]

s_cselect_b32 s0, s0, exec_lo
// GFX13: s_cselect_b32 s0, s0, exec_lo           ; encoding: [0x00,0x7e,0x00,0x85]

s_cselect_b32 s0, s0, m0
// GFX13: s_cselect_b32 s0, s0, m0                ; encoding: [0x00,0x7d,0x00,0x85]

s_cselect_b32 s0, s0, null
// GFX13: s_cselect_b32 s0, s0, null              ; encoding: [0x00,0x7c,0x00,0x85]

s_cselect_b32 s0, s0, 0
// GFX13: s_cselect_b32 s0, s0, 0                 ; encoding: [0x00,0x80,0x00,0x85]

s_cselect_b32 s0, s0, 0.5
// GFX13: s_cselect_b32 s0, s0, 0.5               ; encoding: [0x00,0xf0,0x00,0x85]

s_cselect_b32 s0, s0, 0x12345678
// GFX13: s_cselect_b32 s0, s0, 0x12345678        ; encoding: [0x00,0xff,0x00,0x85,0x78,0x56,0x34,0x12]

s_cselect_b64 s[0:1], s[0:1], s[0:1]
// GFX13: s_cselect_b64 s[0:1], s[0:1], s[0:1]    ; encoding: [0x00,0x00,0x80,0x85]

s_cselect_b64 s[104:105], s[0:1], s[0:1]
// GFX13: s_cselect_b64 s[104:105], s[0:1], s[0:1] ; encoding: [0x00,0x00,0xe8,0x85]

s_cselect_b64 vcc, s[0:1], s[0:1]
// GFX13: s_cselect_b64 vcc, s[0:1], s[0:1]       ; encoding: [0x00,0x00,0xea,0x85]

s_cselect_b64 exec, s[0:1], s[0:1]
// GFX13: s_cselect_b64 exec, s[0:1], s[0:1]      ; encoding: [0x00,0x00,0xfe,0x85]

s_cselect_b64 null, s[0:1], s[0:1]
// GFX13: s_cselect_b64 null, s[0:1], s[0:1]      ; encoding: [0x00,0x00,0xfc,0x85]

s_cselect_b64 s[0:1], s[104:105], s[0:1]
// GFX13: s_cselect_b64 s[0:1], s[104:105], s[0:1] ; encoding: [0x68,0x00,0x80,0x85]

s_cselect_b64 s[0:1], vcc, s[0:1]
// GFX13: s_cselect_b64 s[0:1], vcc, s[0:1]       ; encoding: [0x6a,0x00,0x80,0x85]

s_cselect_b64 s[0:1], exec, s[0:1]
// GFX13: s_cselect_b64 s[0:1], exec, s[0:1]      ; encoding: [0x7e,0x00,0x80,0x85]

s_cselect_b64 s[0:1], null, s[0:1]
// GFX13: s_cselect_b64 s[0:1], null, s[0:1]      ; encoding: [0x7c,0x00,0x80,0x85]

s_cselect_b64 s[0:1], 0, s[0:1]
// GFX13: s_cselect_b64 s[0:1], 0, s[0:1]         ; encoding: [0x80,0x00,0x80,0x85]

s_cselect_b64 s[0:1], 0.5, s[0:1]
// GFX13: s_cselect_b64 s[0:1], 0.5, s[0:1]       ; encoding: [0xf0,0x00,0x80,0x85]

s_cselect_b64 s[0:1], 0x123456789abcdef0, s[0:1]
// GFX13: s_cselect_b64 s[0:1], 0x123456789abcdef0, s[0:1] ; encoding: [0xfe,0x00,0x80,0x85,0xf0,0xde,0xbc,0x9a,0x78,0x56,0x34,0x12]

s_cselect_b64 s[0:1], s[0:1], s[104:105]
// GFX13: s_cselect_b64 s[0:1], s[0:1], s[104:105] ; encoding: [0x00,0x68,0x80,0x85]

s_cselect_b64 s[0:1], s[0:1], vcc
// GFX13: s_cselect_b64 s[0:1], s[0:1], vcc       ; encoding: [0x00,0x6a,0x80,0x85]

s_cselect_b64 s[0:1], s[0:1], exec
// GFX13: s_cselect_b64 s[0:1], s[0:1], exec      ; encoding: [0x00,0x7e,0x80,0x85]

s_cselect_b64 s[0:1], s[0:1], null
// GFX13: s_cselect_b64 s[0:1], s[0:1], null      ; encoding: [0x00,0x7c,0x80,0x85]

s_cselect_b64 s[0:1], s[0:1], 0
// GFX13: s_cselect_b64 s[0:1], s[0:1], 0         ; encoding: [0x00,0x80,0x80,0x85]

s_cselect_b64 s[0:1], s[0:1], 0.5
// GFX13: s_cselect_b64 s[0:1], s[0:1], 0.5       ; encoding: [0x00,0xf0,0x80,0x85]

s_cselect_b64 s[0:1], s[0:1], 0x123456789abcdef0
// GFX13: s_cselect_b64 s[0:1], s[0:1], 0x123456789abcdef0 ; encoding: [0x00,0xfe,0x80,0x85,0xf0,0xde,0xbc,0x9a,0x78,0x56,0x34,0x12]

s_and_b32 s0, s0, s0
// GFX13: s_and_b32 s0, s0, s0                    ; encoding: [0x00,0x00,0x00,0x87]

s_and_b32 s105, s0, s0
// GFX13: s_and_b32 s105, s0, s0                  ; encoding: [0x00,0x00,0x69,0x87]

s_and_b32 vcc_lo, s0, s0
// GFX13: s_and_b32 vcc_lo, s0, s0                ; encoding: [0x00,0x00,0x6a,0x87]

s_and_b32 exec_lo, s0, s0
// GFX13: s_and_b32 exec_lo, s0, s0               ; encoding: [0x00,0x00,0x7e,0x87]

s_and_b32 m0, s0, s0
// GFX13: s_and_b32 m0, s0, s0                    ; encoding: [0x00,0x00,0x7d,0x87]

s_and_b32 null, s0, s0
// GFX13: s_and_b32 null, s0, s0                  ; encoding: [0x00,0x00,0x7c,0x87]

s_and_b32 s0, s105, s0
// GFX13: s_and_b32 s0, s105, s0                  ; encoding: [0x69,0x00,0x00,0x87]

s_and_b32 s0, vcc_lo, s0
// GFX13: s_and_b32 s0, vcc_lo, s0                ; encoding: [0x6a,0x00,0x00,0x87]

s_and_b32 s0, exec_lo, s0
// GFX13: s_and_b32 s0, exec_lo, s0               ; encoding: [0x7e,0x00,0x00,0x87]

s_and_b32 s0, m0, s0
// GFX13: s_and_b32 s0, m0, s0                    ; encoding: [0x7d,0x00,0x00,0x87]

s_and_b32 s0, null, s0
// GFX13: s_and_b32 s0, null, s0                  ; encoding: [0x7c,0x00,0x00,0x87]

s_and_b32 s0, 0, s0
// GFX13: s_and_b32 s0, 0, s0                     ; encoding: [0x80,0x00,0x00,0x87]

s_and_b32 s0, 0.5, s0
// GFX13: s_and_b32 s0, 0.5, s0                   ; encoding: [0xf0,0x00,0x00,0x87]

s_and_b32 s0, 0x12345678, s0
// GFX13: s_and_b32 s0, 0x12345678, s0            ; encoding: [0xff,0x00,0x00,0x87,0x78,0x56,0x34,0x12]

s_and_b32 s0, s0, s105
// GFX13: s_and_b32 s0, s0, s105                  ; encoding: [0x00,0x69,0x00,0x87]

s_and_b32 s0, s0, vcc_lo
// GFX13: s_and_b32 s0, s0, vcc_lo                ; encoding: [0x00,0x6a,0x00,0x87]

s_and_b32 s0, s0, exec_lo
// GFX13: s_and_b32 s0, s0, exec_lo               ; encoding: [0x00,0x7e,0x00,0x87]

s_and_b32 s0, s0, m0
// GFX13: s_and_b32 s0, s0, m0                    ; encoding: [0x00,0x7d,0x00,0x87]

s_and_b32 s0, s0, null
// GFX13: s_and_b32 s0, s0, null                  ; encoding: [0x00,0x7c,0x00,0x87]

s_and_b32 s0, s0, 0
// GFX13: s_and_b32 s0, s0, 0                     ; encoding: [0x00,0x80,0x00,0x87]

s_and_b32 s0, s0, 0.5
// GFX13: s_and_b32 s0, s0, 0.5                   ; encoding: [0x00,0xf0,0x00,0x87]

s_and_b32 s0, s0, 0x12345678
// GFX13: s_and_b32 s0, s0, 0x12345678            ; encoding: [0x00,0xff,0x00,0x87,0x78,0x56,0x34,0x12]

s_and_b64 s[0:1], s[0:1], s[0:1]
// GFX13: s_and_b64 s[0:1], s[0:1], s[0:1]        ; encoding: [0x00,0x00,0x80,0x87]

s_and_b64 s[104:105], s[0:1], s[0:1]
// GFX13: s_and_b64 s[104:105], s[0:1], s[0:1]    ; encoding: [0x00,0x00,0xe8,0x87]

s_and_b64 vcc, s[0:1], s[0:1]
// GFX13: s_and_b64 vcc, s[0:1], s[0:1]           ; encoding: [0x00,0x00,0xea,0x87]

s_and_b64 exec, s[0:1], s[0:1]
// GFX13: s_and_b64 exec, s[0:1], s[0:1]          ; encoding: [0x00,0x00,0xfe,0x87]

s_and_b64 null, s[0:1], s[0:1]
// GFX13: s_and_b64 null, s[0:1], s[0:1]          ; encoding: [0x00,0x00,0xfc,0x87]

s_and_b64 s[0:1], s[104:105], s[0:1]
// GFX13: s_and_b64 s[0:1], s[104:105], s[0:1]    ; encoding: [0x68,0x00,0x80,0x87]

s_and_b64 s[0:1], vcc, s[0:1]
// GFX13: s_and_b64 s[0:1], vcc, s[0:1]           ; encoding: [0x6a,0x00,0x80,0x87]

s_and_b64 s[0:1], exec, s[0:1]
// GFX13: s_and_b64 s[0:1], exec, s[0:1]          ; encoding: [0x7e,0x00,0x80,0x87]

s_and_b64 s[0:1], null, s[0:1]
// GFX13: s_and_b64 s[0:1], null, s[0:1]          ; encoding: [0x7c,0x00,0x80,0x87]

s_and_b64 s[0:1], 0, s[0:1]
// GFX13: s_and_b64 s[0:1], 0, s[0:1]             ; encoding: [0x80,0x00,0x80,0x87]

s_and_b64 s[0:1], 0.5, s[0:1]
// GFX13: s_and_b64 s[0:1], 0.5, s[0:1]           ; encoding: [0xf0,0x00,0x80,0x87]

s_and_b64 s[0:1], 0x123456789abcdef0, s[0:1]
// GFX13: s_and_b64 s[0:1], 0x123456789abcdef0, s[0:1] ; encoding: [0xfe,0x00,0x80,0x87,0xf0,0xde,0xbc,0x9a,0x78,0x56,0x34,0x12]

s_and_b64 s[0:1], s[0:1], s[104:105]
// GFX13: s_and_b64 s[0:1], s[0:1], s[104:105]    ; encoding: [0x00,0x68,0x80,0x87]

s_and_b64 s[0:1], s[0:1], vcc
// GFX13: s_and_b64 s[0:1], s[0:1], vcc           ; encoding: [0x00,0x6a,0x80,0x87]

s_and_b64 s[0:1], s[0:1], exec
// GFX13: s_and_b64 s[0:1], s[0:1], exec          ; encoding: [0x00,0x7e,0x80,0x87]

s_and_b64 s[0:1], s[0:1], null
// GFX13: s_and_b64 s[0:1], s[0:1], null          ; encoding: [0x00,0x7c,0x80,0x87]

s_and_b64 s[0:1], s[0:1], 0
// GFX13: s_and_b64 s[0:1], s[0:1], 0             ; encoding: [0x00,0x80,0x80,0x87]

s_and_b64 s[0:1], s[0:1], 0.5
// GFX13: s_and_b64 s[0:1], s[0:1], 0.5           ; encoding: [0x00,0xf0,0x80,0x87]

s_and_b64 s[0:1], s[0:1], 0x123456789abcdef0
// GFX13: s_and_b64 s[0:1], s[0:1], 0x123456789abcdef0 ; encoding: [0x00,0xfe,0x80,0x87,0xf0,0xde,0xbc,0x9a,0x78,0x56,0x34,0x12]

s_or_b32 s0, s0, s0
// GFX13: s_or_b32 s0, s0, s0                     ; encoding: [0x00,0x00,0x00,0x88]

s_or_b32 s105, s0, s0
// GFX13: s_or_b32 s105, s0, s0                   ; encoding: [0x00,0x00,0x69,0x88]

s_or_b32 vcc_lo, s0, s0
// GFX13: s_or_b32 vcc_lo, s0, s0                 ; encoding: [0x00,0x00,0x6a,0x88]

s_or_b32 exec_lo, s0, s0
// GFX13: s_or_b32 exec_lo, s0, s0                ; encoding: [0x00,0x00,0x7e,0x88]

s_or_b32 m0, s0, s0
// GFX13: s_or_b32 m0, s0, s0                     ; encoding: [0x00,0x00,0x7d,0x88]

s_or_b32 null, s0, s0
// GFX13: s_or_b32 null, s0, s0                   ; encoding: [0x00,0x00,0x7c,0x88]

s_or_b32 s0, s105, s0
// GFX13: s_or_b32 s0, s105, s0                   ; encoding: [0x69,0x00,0x00,0x88]

s_or_b32 s0, vcc_lo, s0
// GFX13: s_or_b32 s0, vcc_lo, s0                 ; encoding: [0x6a,0x00,0x00,0x88]

s_or_b32 s0, exec_lo, s0
// GFX13: s_or_b32 s0, exec_lo, s0                ; encoding: [0x7e,0x00,0x00,0x88]

s_or_b32 s0, m0, s0
// GFX13: s_or_b32 s0, m0, s0                     ; encoding: [0x7d,0x00,0x00,0x88]

s_or_b32 s0, null, s0
// GFX13: s_or_b32 s0, null, s0                   ; encoding: [0x7c,0x00,0x00,0x88]

s_or_b32 s0, 0, s0
// GFX13: s_or_b32 s0, 0, s0                      ; encoding: [0x80,0x00,0x00,0x88]

s_or_b32 s0, 0.5, s0
// GFX13: s_or_b32 s0, 0.5, s0                    ; encoding: [0xf0,0x00,0x00,0x88]

s_or_b32 s0, 0x12345678, s0
// GFX13: s_or_b32 s0, 0x12345678, s0             ; encoding: [0xff,0x00,0x00,0x88,0x78,0x56,0x34,0x12]

s_or_b32 s0, s0, s105
// GFX13: s_or_b32 s0, s0, s105                   ; encoding: [0x00,0x69,0x00,0x88]

s_or_b32 s0, s0, vcc_lo
// GFX13: s_or_b32 s0, s0, vcc_lo                 ; encoding: [0x00,0x6a,0x00,0x88]

s_or_b32 s0, s0, exec_lo
// GFX13: s_or_b32 s0, s0, exec_lo                ; encoding: [0x00,0x7e,0x00,0x88]

s_or_b32 s0, s0, m0
// GFX13: s_or_b32 s0, s0, m0                     ; encoding: [0x00,0x7d,0x00,0x88]

s_or_b32 s0, s0, null
// GFX13: s_or_b32 s0, s0, null                   ; encoding: [0x00,0x7c,0x00,0x88]

s_or_b32 s0, s0, 0
// GFX13: s_or_b32 s0, s0, 0                      ; encoding: [0x00,0x80,0x00,0x88]

s_or_b32 s0, s0, 0.5
// GFX13: s_or_b32 s0, s0, 0.5                    ; encoding: [0x00,0xf0,0x00,0x88]

s_or_b32 s0, s0, 0x12345678
// GFX13: s_or_b32 s0, s0, 0x12345678             ; encoding: [0x00,0xff,0x00,0x88,0x78,0x56,0x34,0x12]

s_or_b64 s[0:1], s[0:1], s[0:1]
// GFX13: s_or_b64 s[0:1], s[0:1], s[0:1]         ; encoding: [0x00,0x00,0x80,0x88]

s_or_b64 s[104:105], s[0:1], s[0:1]
// GFX13: s_or_b64 s[104:105], s[0:1], s[0:1]     ; encoding: [0x00,0x00,0xe8,0x88]

s_or_b64 vcc, s[0:1], s[0:1]
// GFX13: s_or_b64 vcc, s[0:1], s[0:1]            ; encoding: [0x00,0x00,0xea,0x88]

s_or_b64 exec, s[0:1], s[0:1]
// GFX13: s_or_b64 exec, s[0:1], s[0:1]           ; encoding: [0x00,0x00,0xfe,0x88]

s_or_b64 null, s[0:1], s[0:1]
// GFX13: s_or_b64 null, s[0:1], s[0:1]           ; encoding: [0x00,0x00,0xfc,0x88]

s_or_b64 s[0:1], s[104:105], s[0:1]
// GFX13: s_or_b64 s[0:1], s[104:105], s[0:1]     ; encoding: [0x68,0x00,0x80,0x88]

s_or_b64 s[0:1], vcc, s[0:1]
// GFX13: s_or_b64 s[0:1], vcc, s[0:1]            ; encoding: [0x6a,0x00,0x80,0x88]

s_or_b64 s[0:1], exec, s[0:1]
// GFX13: s_or_b64 s[0:1], exec, s[0:1]           ; encoding: [0x7e,0x00,0x80,0x88]

s_or_b64 s[0:1], null, s[0:1]
// GFX13: s_or_b64 s[0:1], null, s[0:1]           ; encoding: [0x7c,0x00,0x80,0x88]

s_or_b64 s[0:1], 0, s[0:1]
// GFX13: s_or_b64 s[0:1], 0, s[0:1]              ; encoding: [0x80,0x00,0x80,0x88]

s_or_b64 s[0:1], 0.5, s[0:1]
// GFX13: s_or_b64 s[0:1], 0.5, s[0:1]            ; encoding: [0xf0,0x00,0x80,0x88]

s_or_b64 s[0:1], 0x123456789abcdef0, s[0:1]
// GFX13: s_or_b64 s[0:1], 0x123456789abcdef0, s[0:1] ; encoding: [0xfe,0x00,0x80,0x88,0xf0,0xde,0xbc,0x9a,0x78,0x56,0x34,0x12]

s_or_b64 s[0:1], s[0:1], s[104:105]
// GFX13: s_or_b64 s[0:1], s[0:1], s[104:105]     ; encoding: [0x00,0x68,0x80,0x88]

s_or_b64 s[0:1], s[0:1], vcc
// GFX13: s_or_b64 s[0:1], s[0:1], vcc            ; encoding: [0x00,0x6a,0x80,0x88]

s_or_b64 s[0:1], s[0:1], exec
// GFX13: s_or_b64 s[0:1], s[0:1], exec           ; encoding: [0x00,0x7e,0x80,0x88]

s_or_b64 s[0:1], s[0:1], null
// GFX13: s_or_b64 s[0:1], s[0:1], null           ; encoding: [0x00,0x7c,0x80,0x88]

s_or_b64 s[0:1], s[0:1], 0
// GFX13: s_or_b64 s[0:1], s[0:1], 0              ; encoding: [0x00,0x80,0x80,0x88]

s_or_b64 s[0:1], s[0:1], 0.5
// GFX13: s_or_b64 s[0:1], s[0:1], 0.5            ; encoding: [0x00,0xf0,0x80,0x88]

s_or_b64 s[0:1], s[0:1], 0x123456789abcdef0
// GFX13: s_or_b64 s[0:1], s[0:1], 0x123456789abcdef0 ; encoding: [0x00,0xfe,0x80,0x88,0xf0,0xde,0xbc,0x9a,0x78,0x56,0x34,0x12]

s_xor_b32 s0, s0, s0
// GFX13: s_xor_b32 s0, s0, s0                    ; encoding: [0x00,0x00,0x00,0x89]

s_xor_b32 s105, s0, s0
// GFX13: s_xor_b32 s105, s0, s0                  ; encoding: [0x00,0x00,0x69,0x89]

s_xor_b32 vcc_lo, s0, s0
// GFX13: s_xor_b32 vcc_lo, s0, s0                ; encoding: [0x00,0x00,0x6a,0x89]

s_xor_b32 exec_lo, s0, s0
// GFX13: s_xor_b32 exec_lo, s0, s0               ; encoding: [0x00,0x00,0x7e,0x89]

s_xor_b32 m0, s0, s0
// GFX13: s_xor_b32 m0, s0, s0                    ; encoding: [0x00,0x00,0x7d,0x89]

s_xor_b32 null, s0, s0
// GFX13: s_xor_b32 null, s0, s0                  ; encoding: [0x00,0x00,0x7c,0x89]

s_xor_b32 s0, s105, s0
// GFX13: s_xor_b32 s0, s105, s0                  ; encoding: [0x69,0x00,0x00,0x89]

s_xor_b32 s0, vcc_lo, s0
// GFX13: s_xor_b32 s0, vcc_lo, s0                ; encoding: [0x6a,0x00,0x00,0x89]

s_xor_b32 s0, exec_lo, s0
// GFX13: s_xor_b32 s0, exec_lo, s0               ; encoding: [0x7e,0x00,0x00,0x89]

s_xor_b32 s0, m0, s0
// GFX13: s_xor_b32 s0, m0, s0                    ; encoding: [0x7d,0x00,0x00,0x89]

s_xor_b32 s0, null, s0
// GFX13: s_xor_b32 s0, null, s0                  ; encoding: [0x7c,0x00,0x00,0x89]

s_xor_b32 s0, 0, s0
// GFX13: s_xor_b32 s0, 0, s0                     ; encoding: [0x80,0x00,0x00,0x89]

s_xor_b32 s0, 0.5, s0
// GFX13: s_xor_b32 s0, 0.5, s0                   ; encoding: [0xf0,0x00,0x00,0x89]

s_xor_b32 s0, 0x12345678, s0
// GFX13: s_xor_b32 s0, 0x12345678, s0            ; encoding: [0xff,0x00,0x00,0x89,0x78,0x56,0x34,0x12]

s_xor_b32 s0, s0, s105
// GFX13: s_xor_b32 s0, s0, s105                  ; encoding: [0x00,0x69,0x00,0x89]

s_xor_b32 s0, s0, vcc_lo
// GFX13: s_xor_b32 s0, s0, vcc_lo                ; encoding: [0x00,0x6a,0x00,0x89]

s_xor_b32 s0, s0, exec_lo
// GFX13: s_xor_b32 s0, s0, exec_lo               ; encoding: [0x00,0x7e,0x00,0x89]

s_xor_b32 s0, s0, m0
// GFX13: s_xor_b32 s0, s0, m0                    ; encoding: [0x00,0x7d,0x00,0x89]

s_xor_b32 s0, s0, null
// GFX13: s_xor_b32 s0, s0, null                  ; encoding: [0x00,0x7c,0x00,0x89]

s_xor_b32 s0, s0, 0
// GFX13: s_xor_b32 s0, s0, 0                     ; encoding: [0x00,0x80,0x00,0x89]

s_xor_b32 s0, s0, 0.5
// GFX13: s_xor_b32 s0, s0, 0.5                   ; encoding: [0x00,0xf0,0x00,0x89]

s_xor_b32 s0, s0, 0x12345678
// GFX13: s_xor_b32 s0, s0, 0x12345678            ; encoding: [0x00,0xff,0x00,0x89,0x78,0x56,0x34,0x12]

s_xor_b64 s[0:1], s[0:1], s[0:1]
// GFX13: s_xor_b64 s[0:1], s[0:1], s[0:1]        ; encoding: [0x00,0x00,0x80,0x89]

s_xor_b64 s[104:105], s[0:1], s[0:1]
// GFX13: s_xor_b64 s[104:105], s[0:1], s[0:1]    ; encoding: [0x00,0x00,0xe8,0x89]

s_xor_b64 vcc, s[0:1], s[0:1]
// GFX13: s_xor_b64 vcc, s[0:1], s[0:1]           ; encoding: [0x00,0x00,0xea,0x89]

s_xor_b64 exec, s[0:1], s[0:1]
// GFX13: s_xor_b64 exec, s[0:1], s[0:1]          ; encoding: [0x00,0x00,0xfe,0x89]

s_xor_b64 null, s[0:1], s[0:1]
// GFX13: s_xor_b64 null, s[0:1], s[0:1]          ; encoding: [0x00,0x00,0xfc,0x89]

s_xor_b64 s[0:1], s[104:105], s[0:1]
// GFX13: s_xor_b64 s[0:1], s[104:105], s[0:1]    ; encoding: [0x68,0x00,0x80,0x89]

s_xor_b64 s[0:1], vcc, s[0:1]
// GFX13: s_xor_b64 s[0:1], vcc, s[0:1]           ; encoding: [0x6a,0x00,0x80,0x89]

s_xor_b64 s[0:1], exec, s[0:1]
// GFX13: s_xor_b64 s[0:1], exec, s[0:1]          ; encoding: [0x7e,0x00,0x80,0x89]

s_xor_b64 s[0:1], null, s[0:1]
// GFX13: s_xor_b64 s[0:1], null, s[0:1]          ; encoding: [0x7c,0x00,0x80,0x89]

s_xor_b64 s[0:1], 0, s[0:1]
// GFX13: s_xor_b64 s[0:1], 0, s[0:1]             ; encoding: [0x80,0x00,0x80,0x89]

s_xor_b64 s[0:1], 0.5, s[0:1]
// GFX13: s_xor_b64 s[0:1], 0.5, s[0:1]           ; encoding: [0xf0,0x00,0x80,0x89]

s_xor_b64 s[0:1], 0x123456789abcdef0, s[0:1]
// GFX13: s_xor_b64 s[0:1], 0x123456789abcdef0, s[0:1] ; encoding: [0xfe,0x00,0x80,0x89,0xf0,0xde,0xbc,0x9a,0x78,0x56,0x34,0x12]

s_xor_b64 s[0:1], s[0:1], s[104:105]
// GFX13: s_xor_b64 s[0:1], s[0:1], s[104:105]    ; encoding: [0x00,0x68,0x80,0x89]

s_xor_b64 s[0:1], s[0:1], vcc
// GFX13: s_xor_b64 s[0:1], s[0:1], vcc           ; encoding: [0x00,0x6a,0x80,0x89]

s_xor_b64 s[0:1], s[0:1], exec
// GFX13: s_xor_b64 s[0:1], s[0:1], exec          ; encoding: [0x00,0x7e,0x80,0x89]

s_xor_b64 s[0:1], s[0:1], null
// GFX13: s_xor_b64 s[0:1], s[0:1], null          ; encoding: [0x00,0x7c,0x80,0x89]

s_xor_b64 s[0:1], s[0:1], 0
// GFX13: s_xor_b64 s[0:1], s[0:1], 0             ; encoding: [0x00,0x80,0x80,0x89]

s_xor_b64 s[0:1], s[0:1], 0.5
// GFX13: s_xor_b64 s[0:1], s[0:1], 0.5           ; encoding: [0x00,0xf0,0x80,0x89]

s_xor_b64 s[0:1], s[0:1], 0x123456789abcdef0
// GFX13: s_xor_b64 s[0:1], s[0:1], 0x123456789abcdef0 ; encoding: [0x00,0xfe,0x80,0x89,0xf0,0xde,0xbc,0x9a,0x78,0x56,0x34,0x12]

s_and_not1_b32 s0, s0, s0
// GFX13: s_and_not1_b32 s0, s0, s0               ; encoding: [0x00,0x00,0x00,0x8a]

s_and_not1_b32 s105, s0, s0
// GFX13: s_and_not1_b32 s105, s0, s0             ; encoding: [0x00,0x00,0x69,0x8a]

s_and_not1_b32 vcc_lo, s0, s0
// GFX13: s_and_not1_b32 vcc_lo, s0, s0           ; encoding: [0x00,0x00,0x6a,0x8a]

s_and_not1_b32 exec_lo, s0, s0
// GFX13: s_and_not1_b32 exec_lo, s0, s0          ; encoding: [0x00,0x00,0x7e,0x8a]

s_and_not1_b32 m0, s0, s0
// GFX13: s_and_not1_b32 m0, s0, s0               ; encoding: [0x00,0x00,0x7d,0x8a]

s_and_not1_b32 null, s0, s0
// GFX13: s_and_not1_b32 null, s0, s0             ; encoding: [0x00,0x00,0x7c,0x8a]

s_and_not1_b32 s0, s105, s0
// GFX13: s_and_not1_b32 s0, s105, s0             ; encoding: [0x69,0x00,0x00,0x8a]

s_and_not1_b32 s0, vcc_lo, s0
// GFX13: s_and_not1_b32 s0, vcc_lo, s0           ; encoding: [0x6a,0x00,0x00,0x8a]

s_and_not1_b32 s0, exec_lo, s0
// GFX13: s_and_not1_b32 s0, exec_lo, s0          ; encoding: [0x7e,0x00,0x00,0x8a]

s_and_not1_b32 s0, m0, s0
// GFX13: s_and_not1_b32 s0, m0, s0               ; encoding: [0x7d,0x00,0x00,0x8a]

s_and_not1_b32 s0, null, s0
// GFX13: s_and_not1_b32 s0, null, s0             ; encoding: [0x7c,0x00,0x00,0x8a]

s_and_not1_b32 s0, 0, s0
// GFX13: s_and_not1_b32 s0, 0, s0                ; encoding: [0x80,0x00,0x00,0x8a]

s_and_not1_b32 s0, 0.5, s0
// GFX13: s_and_not1_b32 s0, 0.5, s0              ; encoding: [0xf0,0x00,0x00,0x8a]

s_and_not1_b32 s0, 0x12345678, s0
// GFX13: s_and_not1_b32 s0, 0x12345678, s0       ; encoding: [0xff,0x00,0x00,0x8a,0x78,0x56,0x34,0x12]

s_and_not1_b32 s0, s0, s105
// GFX13: s_and_not1_b32 s0, s0, s105             ; encoding: [0x00,0x69,0x00,0x8a]

s_and_not1_b32 s0, s0, vcc_lo
// GFX13: s_and_not1_b32 s0, s0, vcc_lo           ; encoding: [0x00,0x6a,0x00,0x8a]

s_and_not1_b32 s0, s0, exec_lo
// GFX13: s_and_not1_b32 s0, s0, exec_lo          ; encoding: [0x00,0x7e,0x00,0x8a]

s_and_not1_b32 s0, s0, m0
// GFX13: s_and_not1_b32 s0, s0, m0               ; encoding: [0x00,0x7d,0x00,0x8a]

s_and_not1_b32 s0, s0, null
// GFX13: s_and_not1_b32 s0, s0, null             ; encoding: [0x00,0x7c,0x00,0x8a]

s_and_not1_b32 s0, s0, 0
// GFX13: s_and_not1_b32 s0, s0, 0                ; encoding: [0x00,0x80,0x00,0x8a]

s_and_not1_b32 s0, s0, 0.5
// GFX13: s_and_not1_b32 s0, s0, 0.5              ; encoding: [0x00,0xf0,0x00,0x8a]

s_and_not1_b32 s0, s0, 0x12345678
// GFX13: s_and_not1_b32 s0, s0, 0x12345678       ; encoding: [0x00,0xff,0x00,0x8a,0x78,0x56,0x34,0x12]

s_and_not1_b64 s[0:1], s[0:1], s[0:1]
// GFX13: s_and_not1_b64 s[0:1], s[0:1], s[0:1]   ; encoding: [0x00,0x00,0x80,0x8a]

s_and_not1_b64 s[104:105], s[0:1], s[0:1]
// GFX13: s_and_not1_b64 s[104:105], s[0:1], s[0:1] ; encoding: [0x00,0x00,0xe8,0x8a]

s_and_not1_b64 vcc, s[0:1], s[0:1]
// GFX13: s_and_not1_b64 vcc, s[0:1], s[0:1]      ; encoding: [0x00,0x00,0xea,0x8a]

s_and_not1_b64 exec, s[0:1], s[0:1]
// GFX13: s_and_not1_b64 exec, s[0:1], s[0:1]     ; encoding: [0x00,0x00,0xfe,0x8a]

s_and_not1_b64 null, s[0:1], s[0:1]
// GFX13: s_and_not1_b64 null, s[0:1], s[0:1]     ; encoding: [0x00,0x00,0xfc,0x8a]

s_and_not1_b64 s[0:1], s[104:105], s[0:1]
// GFX13: s_and_not1_b64 s[0:1], s[104:105], s[0:1] ; encoding: [0x68,0x00,0x80,0x8a]

s_and_not1_b64 s[0:1], vcc, s[0:1]
// GFX13: s_and_not1_b64 s[0:1], vcc, s[0:1]      ; encoding: [0x6a,0x00,0x80,0x8a]

s_and_not1_b64 s[0:1], exec, s[0:1]
// GFX13: s_and_not1_b64 s[0:1], exec, s[0:1]     ; encoding: [0x7e,0x00,0x80,0x8a]

s_and_not1_b64 s[0:1], null, s[0:1]
// GFX13: s_and_not1_b64 s[0:1], null, s[0:1]     ; encoding: [0x7c,0x00,0x80,0x8a]

s_and_not1_b64 s[0:1], 0, s[0:1]
// GFX13: s_and_not1_b64 s[0:1], 0, s[0:1]        ; encoding: [0x80,0x00,0x80,0x8a]

s_and_not1_b64 s[0:1], 0.5, s[0:1]
// GFX13: s_and_not1_b64 s[0:1], 0.5, s[0:1]      ; encoding: [0xf0,0x00,0x80,0x8a]

s_and_not1_b64 s[0:1], 0x123456789abcdef0, s[0:1]
// GFX13: s_and_not1_b64 s[0:1], 0x123456789abcdef0, s[0:1] ; encoding: [0xfe,0x00,0x80,0x8a,0xf0,0xde,0xbc,0x9a,0x78,0x56,0x34,0x12]

s_and_not1_b64 s[0:1], s[0:1], s[104:105]
// GFX13: s_and_not1_b64 s[0:1], s[0:1], s[104:105] ; encoding: [0x00,0x68,0x80,0x8a]

s_and_not1_b64 s[0:1], s[0:1], vcc
// GFX13: s_and_not1_b64 s[0:1], s[0:1], vcc      ; encoding: [0x00,0x6a,0x80,0x8a]

s_and_not1_b64 s[0:1], s[0:1], exec
// GFX13: s_and_not1_b64 s[0:1], s[0:1], exec     ; encoding: [0x00,0x7e,0x80,0x8a]

s_and_not1_b64 s[0:1], s[0:1], null
// GFX13: s_and_not1_b64 s[0:1], s[0:1], null     ; encoding: [0x00,0x7c,0x80,0x8a]

s_and_not1_b64 s[0:1], s[0:1], 0
// GFX13: s_and_not1_b64 s[0:1], s[0:1], 0        ; encoding: [0x00,0x80,0x80,0x8a]

s_and_not1_b64 s[0:1], s[0:1], 0.5
// GFX13: s_and_not1_b64 s[0:1], s[0:1], 0.5      ; encoding: [0x00,0xf0,0x80,0x8a]

s_and_not1_b64 s[0:1], s[0:1], 0x123456789abcdef0
// GFX13: s_and_not1_b64 s[0:1], s[0:1], 0x123456789abcdef0 ; encoding: [0x00,0xfe,0x80,0x8a,0xf0,0xde,0xbc,0x9a,0x78,0x56,0x34,0x12]

s_or_not1_b32 s0, s0, s0
// GFX13: s_or_not1_b32 s0, s0, s0                ; encoding: [0x00,0x00,0x00,0x8b]

s_or_not1_b32 s105, s0, s0
// GFX13: s_or_not1_b32 s105, s0, s0              ; encoding: [0x00,0x00,0x69,0x8b]

s_or_not1_b32 vcc_lo, s0, s0
// GFX13: s_or_not1_b32 vcc_lo, s0, s0            ; encoding: [0x00,0x00,0x6a,0x8b]

s_or_not1_b32 exec_lo, s0, s0
// GFX13: s_or_not1_b32 exec_lo, s0, s0           ; encoding: [0x00,0x00,0x7e,0x8b]

s_or_not1_b32 m0, s0, s0
// GFX13: s_or_not1_b32 m0, s0, s0                ; encoding: [0x00,0x00,0x7d,0x8b]

s_or_not1_b32 null, s0, s0
// GFX13: s_or_not1_b32 null, s0, s0              ; encoding: [0x00,0x00,0x7c,0x8b]

s_or_not1_b32 s0, s105, s0
// GFX13: s_or_not1_b32 s0, s105, s0              ; encoding: [0x69,0x00,0x00,0x8b]

s_or_not1_b32 s0, vcc_lo, s0
// GFX13: s_or_not1_b32 s0, vcc_lo, s0            ; encoding: [0x6a,0x00,0x00,0x8b]

s_or_not1_b32 s0, exec_lo, s0
// GFX13: s_or_not1_b32 s0, exec_lo, s0           ; encoding: [0x7e,0x00,0x00,0x8b]

s_or_not1_b32 s0, m0, s0
// GFX13: s_or_not1_b32 s0, m0, s0                ; encoding: [0x7d,0x00,0x00,0x8b]

s_or_not1_b32 s0, null, s0
// GFX13: s_or_not1_b32 s0, null, s0              ; encoding: [0x7c,0x00,0x00,0x8b]

s_or_not1_b32 s0, 0, s0
// GFX13: s_or_not1_b32 s0, 0, s0                 ; encoding: [0x80,0x00,0x00,0x8b]

s_or_not1_b32 s0, 0.5, s0
// GFX13: s_or_not1_b32 s0, 0.5, s0               ; encoding: [0xf0,0x00,0x00,0x8b]

s_or_not1_b32 s0, 0x12345678, s0
// GFX13: s_or_not1_b32 s0, 0x12345678, s0        ; encoding: [0xff,0x00,0x00,0x8b,0x78,0x56,0x34,0x12]

s_or_not1_b32 s0, s0, s105
// GFX13: s_or_not1_b32 s0, s0, s105              ; encoding: [0x00,0x69,0x00,0x8b]

s_or_not1_b32 s0, s0, vcc_lo
// GFX13: s_or_not1_b32 s0, s0, vcc_lo            ; encoding: [0x00,0x6a,0x00,0x8b]

s_or_not1_b32 s0, s0, exec_lo
// GFX13: s_or_not1_b32 s0, s0, exec_lo           ; encoding: [0x00,0x7e,0x00,0x8b]

s_or_not1_b32 s0, s0, m0
// GFX13: s_or_not1_b32 s0, s0, m0                ; encoding: [0x00,0x7d,0x00,0x8b]

s_or_not1_b32 s0, s0, null
// GFX13: s_or_not1_b32 s0, s0, null              ; encoding: [0x00,0x7c,0x00,0x8b]

s_or_not1_b32 s0, s0, 0
// GFX13: s_or_not1_b32 s0, s0, 0                 ; encoding: [0x00,0x80,0x00,0x8b]

s_or_not1_b32 s0, s0, 0.5
// GFX13: s_or_not1_b32 s0, s0, 0.5               ; encoding: [0x00,0xf0,0x00,0x8b]

s_or_not1_b32 s0, s0, 0x12345678
// GFX13: s_or_not1_b32 s0, s0, 0x12345678        ; encoding: [0x00,0xff,0x00,0x8b,0x78,0x56,0x34,0x12]

s_or_not1_b64 s[0:1], s[0:1], s[0:1]
// GFX13: s_or_not1_b64 s[0:1], s[0:1], s[0:1]    ; encoding: [0x00,0x00,0x80,0x8b]

s_or_not1_b64 s[104:105], s[0:1], s[0:1]
// GFX13: s_or_not1_b64 s[104:105], s[0:1], s[0:1] ; encoding: [0x00,0x00,0xe8,0x8b]

s_or_not1_b64 vcc, s[0:1], s[0:1]
// GFX13: s_or_not1_b64 vcc, s[0:1], s[0:1]       ; encoding: [0x00,0x00,0xea,0x8b]

s_or_not1_b64 exec, s[0:1], s[0:1]
// GFX13: s_or_not1_b64 exec, s[0:1], s[0:1]      ; encoding: [0x00,0x00,0xfe,0x8b]

s_or_not1_b64 null, s[0:1], s[0:1]
// GFX13: s_or_not1_b64 null, s[0:1], s[0:1]      ; encoding: [0x00,0x00,0xfc,0x8b]

s_or_not1_b64 s[0:1], s[104:105], s[0:1]
// GFX13: s_or_not1_b64 s[0:1], s[104:105], s[0:1] ; encoding: [0x68,0x00,0x80,0x8b]

s_or_not1_b64 s[0:1], vcc, s[0:1]
// GFX13: s_or_not1_b64 s[0:1], vcc, s[0:1]       ; encoding: [0x6a,0x00,0x80,0x8b]

s_or_not1_b64 s[0:1], exec, s[0:1]
// GFX13: s_or_not1_b64 s[0:1], exec, s[0:1]      ; encoding: [0x7e,0x00,0x80,0x8b]

s_or_not1_b64 s[0:1], null, s[0:1]
// GFX13: s_or_not1_b64 s[0:1], null, s[0:1]      ; encoding: [0x7c,0x00,0x80,0x8b]

s_or_not1_b64 s[0:1], 0, s[0:1]
// GFX13: s_or_not1_b64 s[0:1], 0, s[0:1]         ; encoding: [0x80,0x00,0x80,0x8b]

s_or_not1_b64 s[0:1], 0.5, s[0:1]
// GFX13: s_or_not1_b64 s[0:1], 0.5, s[0:1]       ; encoding: [0xf0,0x00,0x80,0x8b]

s_or_not1_b64 s[0:1], 0x123456789abcdef0, s[0:1]
// GFX13: s_or_not1_b64 s[0:1], 0x123456789abcdef0, s[0:1] ; encoding: [0xfe,0x00,0x80,0x8b,0xf0,0xde,0xbc,0x9a,0x78,0x56,0x34,0x12]

s_or_not1_b64 s[0:1], s[0:1], s[104:105]
// GFX13: s_or_not1_b64 s[0:1], s[0:1], s[104:105] ; encoding: [0x00,0x68,0x80,0x8b]

s_or_not1_b64 s[0:1], s[0:1], vcc
// GFX13: s_or_not1_b64 s[0:1], s[0:1], vcc       ; encoding: [0x00,0x6a,0x80,0x8b]

s_or_not1_b64 s[0:1], s[0:1], exec
// GFX13: s_or_not1_b64 s[0:1], s[0:1], exec      ; encoding: [0x00,0x7e,0x80,0x8b]

s_or_not1_b64 s[0:1], s[0:1], null
// GFX13: s_or_not1_b64 s[0:1], s[0:1], null      ; encoding: [0x00,0x7c,0x80,0x8b]

s_or_not1_b64 s[0:1], s[0:1], 0
// GFX13: s_or_not1_b64 s[0:1], s[0:1], 0         ; encoding: [0x00,0x80,0x80,0x8b]

s_or_not1_b64 s[0:1], s[0:1], 0.5
// GFX13: s_or_not1_b64 s[0:1], s[0:1], 0.5       ; encoding: [0x00,0xf0,0x80,0x8b]

s_or_not1_b64 s[0:1], s[0:1], 0x123456789abcdef0
// GFX13: s_or_not1_b64 s[0:1], s[0:1], 0x123456789abcdef0 ; encoding: [0x00,0xfe,0x80,0x8b,0xf0,0xde,0xbc,0x9a,0x78,0x56,0x34,0x12]

s_nand_b32 s0, s0, s0
// GFX13: s_nand_b32 s0, s0, s0                   ; encoding: [0x00,0x00,0x00,0x8c]

s_nand_b32 s105, s0, s0
// GFX13: s_nand_b32 s105, s0, s0                 ; encoding: [0x00,0x00,0x69,0x8c]

s_nand_b32 vcc_lo, s0, s0
// GFX13: s_nand_b32 vcc_lo, s0, s0               ; encoding: [0x00,0x00,0x6a,0x8c]

s_nand_b32 exec_lo, s0, s0
// GFX13: s_nand_b32 exec_lo, s0, s0              ; encoding: [0x00,0x00,0x7e,0x8c]

s_nand_b32 m0, s0, s0
// GFX13: s_nand_b32 m0, s0, s0                   ; encoding: [0x00,0x00,0x7d,0x8c]

s_nand_b32 null, s0, s0
// GFX13: s_nand_b32 null, s0, s0                 ; encoding: [0x00,0x00,0x7c,0x8c]

s_nand_b32 s0, s105, s0
// GFX13: s_nand_b32 s0, s105, s0                 ; encoding: [0x69,0x00,0x00,0x8c]

s_nand_b32 s0, vcc_lo, s0
// GFX13: s_nand_b32 s0, vcc_lo, s0               ; encoding: [0x6a,0x00,0x00,0x8c]

s_nand_b32 s0, exec_lo, s0
// GFX13: s_nand_b32 s0, exec_lo, s0              ; encoding: [0x7e,0x00,0x00,0x8c]

s_nand_b32 s0, m0, s0
// GFX13: s_nand_b32 s0, m0, s0                   ; encoding: [0x7d,0x00,0x00,0x8c]

s_nand_b32 s0, null, s0
// GFX13: s_nand_b32 s0, null, s0                 ; encoding: [0x7c,0x00,0x00,0x8c]

s_nand_b32 s0, 0, s0
// GFX13: s_nand_b32 s0, 0, s0                    ; encoding: [0x80,0x00,0x00,0x8c]

s_nand_b32 s0, 0.5, s0
// GFX13: s_nand_b32 s0, 0.5, s0                  ; encoding: [0xf0,0x00,0x00,0x8c]

s_nand_b32 s0, 0x12345678, s0
// GFX13: s_nand_b32 s0, 0x12345678, s0           ; encoding: [0xff,0x00,0x00,0x8c,0x78,0x56,0x34,0x12]

s_nand_b32 s0, s0, s105
// GFX13: s_nand_b32 s0, s0, s105                 ; encoding: [0x00,0x69,0x00,0x8c]

s_nand_b32 s0, s0, vcc_lo
// GFX13: s_nand_b32 s0, s0, vcc_lo               ; encoding: [0x00,0x6a,0x00,0x8c]

s_nand_b32 s0, s0, exec_lo
// GFX13: s_nand_b32 s0, s0, exec_lo              ; encoding: [0x00,0x7e,0x00,0x8c]

s_nand_b32 s0, s0, m0
// GFX13: s_nand_b32 s0, s0, m0                   ; encoding: [0x00,0x7d,0x00,0x8c]

s_nand_b32 s0, s0, null
// GFX13: s_nand_b32 s0, s0, null                 ; encoding: [0x00,0x7c,0x00,0x8c]

s_nand_b32 s0, s0, 0
// GFX13: s_nand_b32 s0, s0, 0                    ; encoding: [0x00,0x80,0x00,0x8c]

s_nand_b32 s0, s0, 0.5
// GFX13: s_nand_b32 s0, s0, 0.5                  ; encoding: [0x00,0xf0,0x00,0x8c]

s_nand_b32 s0, s0, 0x12345678
// GFX13: s_nand_b32 s0, s0, 0x12345678           ; encoding: [0x00,0xff,0x00,0x8c,0x78,0x56,0x34,0x12]

s_nand_b64 s[0:1], s[0:1], s[0:1]
// GFX13: s_nand_b64 s[0:1], s[0:1], s[0:1]       ; encoding: [0x00,0x00,0x80,0x8c]

s_nand_b64 s[104:105], s[0:1], s[0:1]
// GFX13: s_nand_b64 s[104:105], s[0:1], s[0:1]   ; encoding: [0x00,0x00,0xe8,0x8c]

s_nand_b64 vcc, s[0:1], s[0:1]
// GFX13: s_nand_b64 vcc, s[0:1], s[0:1]          ; encoding: [0x00,0x00,0xea,0x8c]

s_nand_b64 exec, s[0:1], s[0:1]
// GFX13: s_nand_b64 exec, s[0:1], s[0:1]         ; encoding: [0x00,0x00,0xfe,0x8c]

s_nand_b64 null, s[0:1], s[0:1]
// GFX13: s_nand_b64 null, s[0:1], s[0:1]         ; encoding: [0x00,0x00,0xfc,0x8c]

s_nand_b64 s[0:1], s[104:105], s[0:1]
// GFX13: s_nand_b64 s[0:1], s[104:105], s[0:1]   ; encoding: [0x68,0x00,0x80,0x8c]

s_nand_b64 s[0:1], vcc, s[0:1]
// GFX13: s_nand_b64 s[0:1], vcc, s[0:1]          ; encoding: [0x6a,0x00,0x80,0x8c]

s_nand_b64 s[0:1], exec, s[0:1]
// GFX13: s_nand_b64 s[0:1], exec, s[0:1]         ; encoding: [0x7e,0x00,0x80,0x8c]

s_nand_b64 s[0:1], null, s[0:1]
// GFX13: s_nand_b64 s[0:1], null, s[0:1]         ; encoding: [0x7c,0x00,0x80,0x8c]

s_nand_b64 s[0:1], 0, s[0:1]
// GFX13: s_nand_b64 s[0:1], 0, s[0:1]            ; encoding: [0x80,0x00,0x80,0x8c]

s_nand_b64 s[0:1], 0.5, s[0:1]
// GFX13: s_nand_b64 s[0:1], 0.5, s[0:1]          ; encoding: [0xf0,0x00,0x80,0x8c]

s_nand_b64 s[0:1], 0x123456789abcdef0, s[0:1]
// GFX13: s_nand_b64 s[0:1], 0x123456789abcdef0, s[0:1] ; encoding: [0xfe,0x00,0x80,0x8c,0xf0,0xde,0xbc,0x9a,0x78,0x56,0x34,0x12]

s_nand_b64 s[0:1], s[0:1], s[104:105]
// GFX13: s_nand_b64 s[0:1], s[0:1], s[104:105]   ; encoding: [0x00,0x68,0x80,0x8c]

s_nand_b64 s[0:1], s[0:1], vcc
// GFX13: s_nand_b64 s[0:1], s[0:1], vcc          ; encoding: [0x00,0x6a,0x80,0x8c]

s_nand_b64 s[0:1], s[0:1], exec
// GFX13: s_nand_b64 s[0:1], s[0:1], exec         ; encoding: [0x00,0x7e,0x80,0x8c]

s_nand_b64 s[0:1], s[0:1], null
// GFX13: s_nand_b64 s[0:1], s[0:1], null         ; encoding: [0x00,0x7c,0x80,0x8c]

s_nand_b64 s[0:1], s[0:1], 0
// GFX13: s_nand_b64 s[0:1], s[0:1], 0            ; encoding: [0x00,0x80,0x80,0x8c]

s_nand_b64 s[0:1], s[0:1], 0.5
// GFX13: s_nand_b64 s[0:1], s[0:1], 0.5          ; encoding: [0x00,0xf0,0x80,0x8c]

s_nand_b64 s[0:1], s[0:1], 0x123456789abcdef0
// GFX13: s_nand_b64 s[0:1], s[0:1], 0x123456789abcdef0 ; encoding: [0x00,0xfe,0x80,0x8c,0xf0,0xde,0xbc,0x9a,0x78,0x56,0x34,0x12]

s_nor_b32 s0, s0, s0
// GFX13: s_nor_b32 s0, s0, s0                    ; encoding: [0x00,0x00,0x00,0x8d]

s_nor_b32 s105, s0, s0
// GFX13: s_nor_b32 s105, s0, s0                  ; encoding: [0x00,0x00,0x69,0x8d]

s_nor_b32 vcc_lo, s0, s0
// GFX13: s_nor_b32 vcc_lo, s0, s0                ; encoding: [0x00,0x00,0x6a,0x8d]

s_nor_b32 exec_lo, s0, s0
// GFX13: s_nor_b32 exec_lo, s0, s0               ; encoding: [0x00,0x00,0x7e,0x8d]

s_nor_b32 m0, s0, s0
// GFX13: s_nor_b32 m0, s0, s0                    ; encoding: [0x00,0x00,0x7d,0x8d]

s_nor_b32 null, s0, s0
// GFX13: s_nor_b32 null, s0, s0                  ; encoding: [0x00,0x00,0x7c,0x8d]

s_nor_b32 s0, s105, s0
// GFX13: s_nor_b32 s0, s105, s0                  ; encoding: [0x69,0x00,0x00,0x8d]

s_nor_b32 s0, vcc_lo, s0
// GFX13: s_nor_b32 s0, vcc_lo, s0                ; encoding: [0x6a,0x00,0x00,0x8d]

s_nor_b32 s0, exec_lo, s0
// GFX13: s_nor_b32 s0, exec_lo, s0               ; encoding: [0x7e,0x00,0x00,0x8d]

s_nor_b32 s0, m0, s0
// GFX13: s_nor_b32 s0, m0, s0                    ; encoding: [0x7d,0x00,0x00,0x8d]

s_nor_b32 s0, null, s0
// GFX13: s_nor_b32 s0, null, s0                  ; encoding: [0x7c,0x00,0x00,0x8d]

s_nor_b32 s0, 0, s0
// GFX13: s_nor_b32 s0, 0, s0                     ; encoding: [0x80,0x00,0x00,0x8d]

s_nor_b32 s0, 0.5, s0
// GFX13: s_nor_b32 s0, 0.5, s0                   ; encoding: [0xf0,0x00,0x00,0x8d]

s_nor_b32 s0, 0x12345678, s0
// GFX13: s_nor_b32 s0, 0x12345678, s0            ; encoding: [0xff,0x00,0x00,0x8d,0x78,0x56,0x34,0x12]

s_nor_b32 s0, s0, s105
// GFX13: s_nor_b32 s0, s0, s105                  ; encoding: [0x00,0x69,0x00,0x8d]

s_nor_b32 s0, s0, vcc_lo
// GFX13: s_nor_b32 s0, s0, vcc_lo                ; encoding: [0x00,0x6a,0x00,0x8d]

s_nor_b32 s0, s0, exec_lo
// GFX13: s_nor_b32 s0, s0, exec_lo               ; encoding: [0x00,0x7e,0x00,0x8d]

s_nor_b32 s0, s0, m0
// GFX13: s_nor_b32 s0, s0, m0                    ; encoding: [0x00,0x7d,0x00,0x8d]

s_nor_b32 s0, s0, null
// GFX13: s_nor_b32 s0, s0, null                  ; encoding: [0x00,0x7c,0x00,0x8d]

s_nor_b32 s0, s0, 0
// GFX13: s_nor_b32 s0, s0, 0                     ; encoding: [0x00,0x80,0x00,0x8d]

s_nor_b32 s0, s0, 0.5
// GFX13: s_nor_b32 s0, s0, 0.5                   ; encoding: [0x00,0xf0,0x00,0x8d]

s_nor_b32 s0, s0, 0x12345678
// GFX13: s_nor_b32 s0, s0, 0x12345678            ; encoding: [0x00,0xff,0x00,0x8d,0x78,0x56,0x34,0x12]

s_nor_b64 s[0:1], s[0:1], s[0:1]
// GFX13: s_nor_b64 s[0:1], s[0:1], s[0:1]        ; encoding: [0x00,0x00,0x80,0x8d]

s_nor_b64 s[104:105], s[0:1], s[0:1]
// GFX13: s_nor_b64 s[104:105], s[0:1], s[0:1]    ; encoding: [0x00,0x00,0xe8,0x8d]

s_nor_b64 vcc, s[0:1], s[0:1]
// GFX13: s_nor_b64 vcc, s[0:1], s[0:1]           ; encoding: [0x00,0x00,0xea,0x8d]

s_nor_b64 exec, s[0:1], s[0:1]
// GFX13: s_nor_b64 exec, s[0:1], s[0:1]          ; encoding: [0x00,0x00,0xfe,0x8d]

s_nor_b64 null, s[0:1], s[0:1]
// GFX13: s_nor_b64 null, s[0:1], s[0:1]          ; encoding: [0x00,0x00,0xfc,0x8d]

s_nor_b64 s[0:1], s[104:105], s[0:1]
// GFX13: s_nor_b64 s[0:1], s[104:105], s[0:1]    ; encoding: [0x68,0x00,0x80,0x8d]

s_nor_b64 s[0:1], vcc, s[0:1]
// GFX13: s_nor_b64 s[0:1], vcc, s[0:1]           ; encoding: [0x6a,0x00,0x80,0x8d]

s_nor_b64 s[0:1], exec, s[0:1]
// GFX13: s_nor_b64 s[0:1], exec, s[0:1]          ; encoding: [0x7e,0x00,0x80,0x8d]

s_nor_b64 s[0:1], null, s[0:1]
// GFX13: s_nor_b64 s[0:1], null, s[0:1]          ; encoding: [0x7c,0x00,0x80,0x8d]

s_nor_b64 s[0:1], 0, s[0:1]
// GFX13: s_nor_b64 s[0:1], 0, s[0:1]             ; encoding: [0x80,0x00,0x80,0x8d]

s_nor_b64 s[0:1], 0.5, s[0:1]
// GFX13: s_nor_b64 s[0:1], 0.5, s[0:1]           ; encoding: [0xf0,0x00,0x80,0x8d]

s_nor_b64 s[0:1], 0x123456789abcdef0, s[0:1]
// GFX13: s_nor_b64 s[0:1], 0x123456789abcdef0, s[0:1] ; encoding: [0xfe,0x00,0x80,0x8d,0xf0,0xde,0xbc,0x9a,0x78,0x56,0x34,0x12]

s_nor_b64 s[0:1], s[0:1], s[104:105]
// GFX13: s_nor_b64 s[0:1], s[0:1], s[104:105]    ; encoding: [0x00,0x68,0x80,0x8d]

s_nor_b64 s[0:1], s[0:1], vcc
// GFX13: s_nor_b64 s[0:1], s[0:1], vcc           ; encoding: [0x00,0x6a,0x80,0x8d]

s_nor_b64 s[0:1], s[0:1], exec
// GFX13: s_nor_b64 s[0:1], s[0:1], exec          ; encoding: [0x00,0x7e,0x80,0x8d]

s_nor_b64 s[0:1], s[0:1], null
// GFX13: s_nor_b64 s[0:1], s[0:1], null          ; encoding: [0x00,0x7c,0x80,0x8d]

s_nor_b64 s[0:1], s[0:1], 0
// GFX13: s_nor_b64 s[0:1], s[0:1], 0             ; encoding: [0x00,0x80,0x80,0x8d]

s_nor_b64 s[0:1], s[0:1], 0.5
// GFX13: s_nor_b64 s[0:1], s[0:1], 0.5           ; encoding: [0x00,0xf0,0x80,0x8d]

s_nor_b64 s[0:1], s[0:1], 0x123456789abcdef0
// GFX13: s_nor_b64 s[0:1], s[0:1], 0x123456789abcdef0 ; encoding: [0x00,0xfe,0x80,0x8d,0xf0,0xde,0xbc,0x9a,0x78,0x56,0x34,0x12]

s_xnor_b32 s0, s0, s0
// GFX13: s_xnor_b32 s0, s0, s0                   ; encoding: [0x00,0x00,0x00,0x8e]

s_xnor_b32 s105, s0, s0
// GFX13: s_xnor_b32 s105, s0, s0                 ; encoding: [0x00,0x00,0x69,0x8e]

s_xnor_b32 vcc_lo, s0, s0
// GFX13: s_xnor_b32 vcc_lo, s0, s0               ; encoding: [0x00,0x00,0x6a,0x8e]

s_xnor_b32 exec_lo, s0, s0
// GFX13: s_xnor_b32 exec_lo, s0, s0              ; encoding: [0x00,0x00,0x7e,0x8e]

s_xnor_b32 m0, s0, s0
// GFX13: s_xnor_b32 m0, s0, s0                   ; encoding: [0x00,0x00,0x7d,0x8e]

s_xnor_b32 null, s0, s0
// GFX13: s_xnor_b32 null, s0, s0                 ; encoding: [0x00,0x00,0x7c,0x8e]

s_xnor_b32 s0, s105, s0
// GFX13: s_xnor_b32 s0, s105, s0                 ; encoding: [0x69,0x00,0x00,0x8e]

s_xnor_b32 s0, vcc_lo, s0
// GFX13: s_xnor_b32 s0, vcc_lo, s0               ; encoding: [0x6a,0x00,0x00,0x8e]

s_xnor_b32 s0, exec_lo, s0
// GFX13: s_xnor_b32 s0, exec_lo, s0              ; encoding: [0x7e,0x00,0x00,0x8e]

s_xnor_b32 s0, m0, s0
// GFX13: s_xnor_b32 s0, m0, s0                   ; encoding: [0x7d,0x00,0x00,0x8e]

s_xnor_b32 s0, null, s0
// GFX13: s_xnor_b32 s0, null, s0                 ; encoding: [0x7c,0x00,0x00,0x8e]

s_xnor_b32 s0, 0, s0
// GFX13: s_xnor_b32 s0, 0, s0                    ; encoding: [0x80,0x00,0x00,0x8e]

s_xnor_b32 s0, 0.5, s0
// GFX13: s_xnor_b32 s0, 0.5, s0                  ; encoding: [0xf0,0x00,0x00,0x8e]

s_xnor_b32 s0, 0x12345678, s0
// GFX13: s_xnor_b32 s0, 0x12345678, s0           ; encoding: [0xff,0x00,0x00,0x8e,0x78,0x56,0x34,0x12]

s_xnor_b32 s0, s0, s105
// GFX13: s_xnor_b32 s0, s0, s105                 ; encoding: [0x00,0x69,0x00,0x8e]

s_xnor_b32 s0, s0, vcc_lo
// GFX13: s_xnor_b32 s0, s0, vcc_lo               ; encoding: [0x00,0x6a,0x00,0x8e]

s_xnor_b32 s0, s0, exec_lo
// GFX13: s_xnor_b32 s0, s0, exec_lo              ; encoding: [0x00,0x7e,0x00,0x8e]

s_xnor_b32 s0, s0, m0
// GFX13: s_xnor_b32 s0, s0, m0                   ; encoding: [0x00,0x7d,0x00,0x8e]

s_xnor_b32 s0, s0, null
// GFX13: s_xnor_b32 s0, s0, null                 ; encoding: [0x00,0x7c,0x00,0x8e]

s_xnor_b32 s0, s0, 0
// GFX13: s_xnor_b32 s0, s0, 0                    ; encoding: [0x00,0x80,0x00,0x8e]

s_xnor_b32 s0, s0, 0.5
// GFX13: s_xnor_b32 s0, s0, 0.5                  ; encoding: [0x00,0xf0,0x00,0x8e]

s_xnor_b32 s0, s0, 0x12345678
// GFX13: s_xnor_b32 s0, s0, 0x12345678           ; encoding: [0x00,0xff,0x00,0x8e,0x78,0x56,0x34,0x12]

s_xnor_b64 s[0:1], s[0:1], s[0:1]
// GFX13: s_xnor_b64 s[0:1], s[0:1], s[0:1]       ; encoding: [0x00,0x00,0x80,0x8e]

s_xnor_b64 s[104:105], s[0:1], s[0:1]
// GFX13: s_xnor_b64 s[104:105], s[0:1], s[0:1]   ; encoding: [0x00,0x00,0xe8,0x8e]

s_xnor_b64 vcc, s[0:1], s[0:1]
// GFX13: s_xnor_b64 vcc, s[0:1], s[0:1]          ; encoding: [0x00,0x00,0xea,0x8e]

s_xnor_b64 exec, s[0:1], s[0:1]
// GFX13: s_xnor_b64 exec, s[0:1], s[0:1]         ; encoding: [0x00,0x00,0xfe,0x8e]

s_xnor_b64 null, s[0:1], s[0:1]
// GFX13: s_xnor_b64 null, s[0:1], s[0:1]         ; encoding: [0x00,0x00,0xfc,0x8e]

s_xnor_b64 s[0:1], s[104:105], s[0:1]
// GFX13: s_xnor_b64 s[0:1], s[104:105], s[0:1]   ; encoding: [0x68,0x00,0x80,0x8e]

s_xnor_b64 s[0:1], vcc, s[0:1]
// GFX13: s_xnor_b64 s[0:1], vcc, s[0:1]          ; encoding: [0x6a,0x00,0x80,0x8e]

s_xnor_b64 s[0:1], exec, s[0:1]
// GFX13: s_xnor_b64 s[0:1], exec, s[0:1]         ; encoding: [0x7e,0x00,0x80,0x8e]

s_xnor_b64 s[0:1], null, s[0:1]
// GFX13: s_xnor_b64 s[0:1], null, s[0:1]         ; encoding: [0x7c,0x00,0x80,0x8e]

s_xnor_b64 s[0:1], 0, s[0:1]
// GFX13: s_xnor_b64 s[0:1], 0, s[0:1]            ; encoding: [0x80,0x00,0x80,0x8e]

s_xnor_b64 s[0:1], 0.5, s[0:1]
// GFX13: s_xnor_b64 s[0:1], 0.5, s[0:1]          ; encoding: [0xf0,0x00,0x80,0x8e]

s_xnor_b64 s[0:1], 0x123456789abcdef0, s[0:1]
// GFX13: s_xnor_b64 s[0:1], 0x123456789abcdef0, s[0:1] ; encoding: [0xfe,0x00,0x80,0x8e,0xf0,0xde,0xbc,0x9a,0x78,0x56,0x34,0x12]

s_xnor_b64 s[0:1], s[0:1], s[104:105]
// GFX13: s_xnor_b64 s[0:1], s[0:1], s[104:105]   ; encoding: [0x00,0x68,0x80,0x8e]

s_xnor_b64 s[0:1], s[0:1], vcc
// GFX13: s_xnor_b64 s[0:1], s[0:1], vcc          ; encoding: [0x00,0x6a,0x80,0x8e]

s_xnor_b64 s[0:1], s[0:1], exec
// GFX13: s_xnor_b64 s[0:1], s[0:1], exec         ; encoding: [0x00,0x7e,0x80,0x8e]

s_xnor_b64 s[0:1], s[0:1], null
// GFX13: s_xnor_b64 s[0:1], s[0:1], null         ; encoding: [0x00,0x7c,0x80,0x8e]

s_xnor_b64 s[0:1], s[0:1], 0
// GFX13: s_xnor_b64 s[0:1], s[0:1], 0            ; encoding: [0x00,0x80,0x80,0x8e]

s_xnor_b64 s[0:1], s[0:1], 0.5
// GFX13: s_xnor_b64 s[0:1], s[0:1], 0.5          ; encoding: [0x00,0xf0,0x80,0x8e]

s_xnor_b64 s[0:1], s[0:1], 0x123456789abcdef0
// GFX13: s_xnor_b64 s[0:1], s[0:1], 0x123456789abcdef0 ; encoding: [0x00,0xfe,0x80,0x8e,0xf0,0xde,0xbc,0x9a,0x78,0x56,0x34,0x12]

s_lshl_b32 s0, s0, s0
// GFX13: s_lshl_b32 s0, s0, s0                   ; encoding: [0x00,0x00,0x00,0x8f]

s_lshl_b32 s105, s0, s0
// GFX13: s_lshl_b32 s105, s0, s0                 ; encoding: [0x00,0x00,0x69,0x8f]

s_lshl_b32 vcc_lo, s0, s0
// GFX13: s_lshl_b32 vcc_lo, s0, s0               ; encoding: [0x00,0x00,0x6a,0x8f]

s_lshl_b32 exec_lo, s0, s0
// GFX13: s_lshl_b32 exec_lo, s0, s0              ; encoding: [0x00,0x00,0x7e,0x8f]

s_lshl_b32 m0, s0, s0
// GFX13: s_lshl_b32 m0, s0, s0                   ; encoding: [0x00,0x00,0x7d,0x8f]

s_lshl_b32 null, s0, s0
// GFX13: s_lshl_b32 null, s0, s0                 ; encoding: [0x00,0x00,0x7c,0x8f]

s_lshl_b32 s0, s105, s0
// GFX13: s_lshl_b32 s0, s105, s0                 ; encoding: [0x69,0x00,0x00,0x8f]

s_lshl_b32 s0, vcc_lo, s0
// GFX13: s_lshl_b32 s0, vcc_lo, s0               ; encoding: [0x6a,0x00,0x00,0x8f]

s_lshl_b32 s0, exec_lo, s0
// GFX13: s_lshl_b32 s0, exec_lo, s0              ; encoding: [0x7e,0x00,0x00,0x8f]

s_lshl_b32 s0, m0, s0
// GFX13: s_lshl_b32 s0, m0, s0                   ; encoding: [0x7d,0x00,0x00,0x8f]

s_lshl_b32 s0, null, s0
// GFX13: s_lshl_b32 s0, null, s0                 ; encoding: [0x7c,0x00,0x00,0x8f]

s_lshl_b32 s0, 0, s0
// GFX13: s_lshl_b32 s0, 0, s0                    ; encoding: [0x80,0x00,0x00,0x8f]

s_lshl_b32 s0, 0.5, s0
// GFX13: s_lshl_b32 s0, 0.5, s0                  ; encoding: [0xf0,0x00,0x00,0x8f]

s_lshl_b32 s0, 0x12345678, s0
// GFX13: s_lshl_b32 s0, 0x12345678, s0           ; encoding: [0xff,0x00,0x00,0x8f,0x78,0x56,0x34,0x12]

s_lshl_b32 s0, s0, s105
// GFX13: s_lshl_b32 s0, s0, s105                 ; encoding: [0x00,0x69,0x00,0x8f]

s_lshl_b32 s0, s0, vcc_lo
// GFX13: s_lshl_b32 s0, s0, vcc_lo               ; encoding: [0x00,0x6a,0x00,0x8f]

s_lshl_b32 s0, s0, exec_lo
// GFX13: s_lshl_b32 s0, s0, exec_lo              ; encoding: [0x00,0x7e,0x00,0x8f]

s_lshl_b32 s0, s0, m0
// GFX13: s_lshl_b32 s0, s0, m0                   ; encoding: [0x00,0x7d,0x00,0x8f]

s_lshl_b32 s0, s0, null
// GFX13: s_lshl_b32 s0, s0, null                 ; encoding: [0x00,0x7c,0x00,0x8f]

s_lshl_b32 s0, s0, 0
// GFX13: s_lshl_b32 s0, s0, 0                    ; encoding: [0x00,0x80,0x00,0x8f]

s_lshl_b32 s0, s0, 0.5
// GFX13: s_lshl_b32 s0, s0, 0.5                  ; encoding: [0x00,0xf0,0x00,0x8f]

s_lshl_b32 s0, s0, 0x12345678
// GFX13: s_lshl_b32 s0, s0, 0x12345678           ; encoding: [0x00,0xff,0x00,0x8f,0x78,0x56,0x34,0x12]

s_lshl_b64 s[0:1], s[0:1], s0
// GFX13: s_lshl_b64 s[0:1], s[0:1], s0           ; encoding: [0x00,0x00,0x80,0x8f]

s_lshl_b64 s[104:105], s[0:1], s0
// GFX13: s_lshl_b64 s[104:105], s[0:1], s0       ; encoding: [0x00,0x00,0xe8,0x8f]

s_lshl_b64 vcc, s[0:1], s0
// GFX13: s_lshl_b64 vcc, s[0:1], s0              ; encoding: [0x00,0x00,0xea,0x8f]

s_lshl_b64 exec, s[0:1], s0
// GFX13: s_lshl_b64 exec, s[0:1], s0             ; encoding: [0x00,0x00,0xfe,0x8f]

s_lshl_b64 null, s[0:1], s0
// GFX13: s_lshl_b64 null, s[0:1], s0             ; encoding: [0x00,0x00,0xfc,0x8f]

s_lshl_b64 s[0:1], s[104:105], s0
// GFX13: s_lshl_b64 s[0:1], s[104:105], s0       ; encoding: [0x68,0x00,0x80,0x8f]

s_lshl_b64 s[0:1], vcc, s0
// GFX13: s_lshl_b64 s[0:1], vcc, s0              ; encoding: [0x6a,0x00,0x80,0x8f]

s_lshl_b64 s[0:1], exec, s0
// GFX13: s_lshl_b64 s[0:1], exec, s0             ; encoding: [0x7e,0x00,0x80,0x8f]

s_lshl_b64 s[0:1], null, s0
// GFX13: s_lshl_b64 s[0:1], null, s0             ; encoding: [0x7c,0x00,0x80,0x8f]

s_lshl_b64 s[0:1], 0, s0
// GFX13: s_lshl_b64 s[0:1], 0, s0                ; encoding: [0x80,0x00,0x80,0x8f]

s_lshl_b64 s[0:1], 0.5, s0
// GFX13: s_lshl_b64 s[0:1], 0.5, s0              ; encoding: [0xf0,0x00,0x80,0x8f]

s_lshl_b64 s[0:1], 0x123456789abcdef0, s0
// GFX13: s_lshl_b64 s[0:1], 0x123456789abcdef0, s0 ; encoding: [0xfe,0x00,0x80,0x8f,0xf0,0xde,0xbc,0x9a,0x78,0x56,0x34,0x12]

s_lshl_b64 s[0:1], s[0:1], s105
// GFX13: s_lshl_b64 s[0:1], s[0:1], s105         ; encoding: [0x00,0x69,0x80,0x8f]

s_lshl_b64 s[0:1], s[0:1], vcc_lo
// GFX13: s_lshl_b64 s[0:1], s[0:1], vcc_lo       ; encoding: [0x00,0x6a,0x80,0x8f]

s_lshl_b64 s[0:1], s[0:1], exec_lo
// GFX13: s_lshl_b64 s[0:1], s[0:1], exec_lo      ; encoding: [0x00,0x7e,0x80,0x8f]

s_lshl_b64 s[0:1], s[0:1], m0
// GFX13: s_lshl_b64 s[0:1], s[0:1], m0           ; encoding: [0x00,0x7d,0x80,0x8f]

s_lshl_b64 s[0:1], s[0:1], null
// GFX13: s_lshl_b64 s[0:1], s[0:1], null         ; encoding: [0x00,0x7c,0x80,0x8f]

s_lshl_b64 s[0:1], s[0:1], 0
// GFX13: s_lshl_b64 s[0:1], s[0:1], 0            ; encoding: [0x00,0x80,0x80,0x8f]

s_lshl_b64 s[0:1], s[0:1], 0.5
// GFX13: s_lshl_b64 s[0:1], s[0:1], 0.5          ; encoding: [0x00,0xf0,0x80,0x8f]

s_lshl_b64 s[0:1], s[0:1], 0x12345678
// GFX13: s_lshl_b64 s[0:1], s[0:1], 0x12345678   ; encoding: [0x00,0xff,0x80,0x8f,0x78,0x56,0x34,0x12]

s_lshr_b32 s0, s0, s0
// GFX13: s_lshr_b32 s0, s0, s0                   ; encoding: [0x00,0x00,0x00,0x90]

s_lshr_b32 s105, s0, s0
// GFX13: s_lshr_b32 s105, s0, s0                 ; encoding: [0x00,0x00,0x69,0x90]

s_lshr_b32 vcc_lo, s0, s0
// GFX13: s_lshr_b32 vcc_lo, s0, s0               ; encoding: [0x00,0x00,0x6a,0x90]

s_lshr_b32 exec_lo, s0, s0
// GFX13: s_lshr_b32 exec_lo, s0, s0              ; encoding: [0x00,0x00,0x7e,0x90]

s_lshr_b32 m0, s0, s0
// GFX13: s_lshr_b32 m0, s0, s0                   ; encoding: [0x00,0x00,0x7d,0x90]

s_lshr_b32 null, s0, s0
// GFX13: s_lshr_b32 null, s0, s0                 ; encoding: [0x00,0x00,0x7c,0x90]

s_lshr_b32 s0, s105, s0
// GFX13: s_lshr_b32 s0, s105, s0                 ; encoding: [0x69,0x00,0x00,0x90]

s_lshr_b32 s0, vcc_lo, s0
// GFX13: s_lshr_b32 s0, vcc_lo, s0               ; encoding: [0x6a,0x00,0x00,0x90]

s_lshr_b32 s0, exec_lo, s0
// GFX13: s_lshr_b32 s0, exec_lo, s0              ; encoding: [0x7e,0x00,0x00,0x90]

s_lshr_b32 s0, m0, s0
// GFX13: s_lshr_b32 s0, m0, s0                   ; encoding: [0x7d,0x00,0x00,0x90]

s_lshr_b32 s0, null, s0
// GFX13: s_lshr_b32 s0, null, s0                 ; encoding: [0x7c,0x00,0x00,0x90]

s_lshr_b32 s0, 0, s0
// GFX13: s_lshr_b32 s0, 0, s0                    ; encoding: [0x80,0x00,0x00,0x90]

s_lshr_b32 s0, 0.5, s0
// GFX13: s_lshr_b32 s0, 0.5, s0                  ; encoding: [0xf0,0x00,0x00,0x90]

s_lshr_b32 s0, 0x12345678, s0
// GFX13: s_lshr_b32 s0, 0x12345678, s0           ; encoding: [0xff,0x00,0x00,0x90,0x78,0x56,0x34,0x12]

s_lshr_b32 s0, s0, s105
// GFX13: s_lshr_b32 s0, s0, s105                 ; encoding: [0x00,0x69,0x00,0x90]

s_lshr_b32 s0, s0, vcc_lo
// GFX13: s_lshr_b32 s0, s0, vcc_lo               ; encoding: [0x00,0x6a,0x00,0x90]

s_lshr_b32 s0, s0, exec_lo
// GFX13: s_lshr_b32 s0, s0, exec_lo              ; encoding: [0x00,0x7e,0x00,0x90]

s_lshr_b32 s0, s0, m0
// GFX13: s_lshr_b32 s0, s0, m0                   ; encoding: [0x00,0x7d,0x00,0x90]

s_lshr_b32 s0, s0, null
// GFX13: s_lshr_b32 s0, s0, null                 ; encoding: [0x00,0x7c,0x00,0x90]

s_lshr_b32 s0, s0, 0
// GFX13: s_lshr_b32 s0, s0, 0                    ; encoding: [0x00,0x80,0x00,0x90]

s_lshr_b32 s0, s0, 0.5
// GFX13: s_lshr_b32 s0, s0, 0.5                  ; encoding: [0x00,0xf0,0x00,0x90]

s_lshr_b32 s0, s0, 0x12345678
// GFX13: s_lshr_b32 s0, s0, 0x12345678           ; encoding: [0x00,0xff,0x00,0x90,0x78,0x56,0x34,0x12]

s_lshr_b64 s[0:1], s[0:1], s0
// GFX13: s_lshr_b64 s[0:1], s[0:1], s0           ; encoding: [0x00,0x00,0x80,0x90]

s_lshr_b64 s[104:105], s[0:1], s0
// GFX13: s_lshr_b64 s[104:105], s[0:1], s0       ; encoding: [0x00,0x00,0xe8,0x90]

s_lshr_b64 vcc, s[0:1], s0
// GFX13: s_lshr_b64 vcc, s[0:1], s0              ; encoding: [0x00,0x00,0xea,0x90]

s_lshr_b64 exec, s[0:1], s0
// GFX13: s_lshr_b64 exec, s[0:1], s0             ; encoding: [0x00,0x00,0xfe,0x90]

s_lshr_b64 null, s[0:1], s0
// GFX13: s_lshr_b64 null, s[0:1], s0             ; encoding: [0x00,0x00,0xfc,0x90]

s_lshr_b64 s[0:1], s[104:105], s0
// GFX13: s_lshr_b64 s[0:1], s[104:105], s0       ; encoding: [0x68,0x00,0x80,0x90]

s_lshr_b64 s[0:1], vcc, s0
// GFX13: s_lshr_b64 s[0:1], vcc, s0              ; encoding: [0x6a,0x00,0x80,0x90]

s_lshr_b64 s[0:1], exec, s0
// GFX13: s_lshr_b64 s[0:1], exec, s0             ; encoding: [0x7e,0x00,0x80,0x90]

s_lshr_b64 s[0:1], null, s0
// GFX13: s_lshr_b64 s[0:1], null, s0             ; encoding: [0x7c,0x00,0x80,0x90]

s_lshr_b64 s[0:1], 0, s0
// GFX13: s_lshr_b64 s[0:1], 0, s0                ; encoding: [0x80,0x00,0x80,0x90]

s_lshr_b64 s[0:1], 0.5, s0
// GFX13: s_lshr_b64 s[0:1], 0.5, s0              ; encoding: [0xf0,0x00,0x80,0x90]

s_lshr_b64 s[0:1], 0x123456789abcdef0, s0
// GFX13: s_lshr_b64 s[0:1], 0x123456789abcdef0, s0 ; encoding: [0xfe,0x00,0x80,0x90,0xf0,0xde,0xbc,0x9a,0x78,0x56,0x34,0x12]

s_lshr_b64 s[0:1], s[0:1], s105
// GFX13: s_lshr_b64 s[0:1], s[0:1], s105         ; encoding: [0x00,0x69,0x80,0x90]

s_lshr_b64 s[0:1], s[0:1], vcc_lo
// GFX13: s_lshr_b64 s[0:1], s[0:1], vcc_lo       ; encoding: [0x00,0x6a,0x80,0x90]

s_lshr_b64 s[0:1], s[0:1], exec_lo
// GFX13: s_lshr_b64 s[0:1], s[0:1], exec_lo      ; encoding: [0x00,0x7e,0x80,0x90]

s_lshr_b64 s[0:1], s[0:1], m0
// GFX13: s_lshr_b64 s[0:1], s[0:1], m0           ; encoding: [0x00,0x7d,0x80,0x90]

s_lshr_b64 s[0:1], s[0:1], null
// GFX13: s_lshr_b64 s[0:1], s[0:1], null         ; encoding: [0x00,0x7c,0x80,0x90]

s_lshr_b64 s[0:1], s[0:1], 0
// GFX13: s_lshr_b64 s[0:1], s[0:1], 0            ; encoding: [0x00,0x80,0x80,0x90]

s_lshr_b64 s[0:1], s[0:1], 0.5
// GFX13: s_lshr_b64 s[0:1], s[0:1], 0.5          ; encoding: [0x00,0xf0,0x80,0x90]

s_lshr_b64 s[0:1], s[0:1], 0x12345678
// GFX13: s_lshr_b64 s[0:1], s[0:1], 0x12345678   ; encoding: [0x00,0xff,0x80,0x90,0x78,0x56,0x34,0x12]

s_ashr_i32 s0, s0, s0
// GFX13: s_ashr_i32 s0, s0, s0                   ; encoding: [0x00,0x00,0x00,0x91]

s_ashr_i32 s105, s0, s0
// GFX13: s_ashr_i32 s105, s0, s0                 ; encoding: [0x00,0x00,0x69,0x91]

s_ashr_i32 vcc_lo, s0, s0
// GFX13: s_ashr_i32 vcc_lo, s0, s0               ; encoding: [0x00,0x00,0x6a,0x91]

s_ashr_i32 exec_lo, s0, s0
// GFX13: s_ashr_i32 exec_lo, s0, s0              ; encoding: [0x00,0x00,0x7e,0x91]

s_ashr_i32 m0, s0, s0
// GFX13: s_ashr_i32 m0, s0, s0                   ; encoding: [0x00,0x00,0x7d,0x91]

s_ashr_i32 null, s0, s0
// GFX13: s_ashr_i32 null, s0, s0                 ; encoding: [0x00,0x00,0x7c,0x91]

s_ashr_i32 s0, s105, s0
// GFX13: s_ashr_i32 s0, s105, s0                 ; encoding: [0x69,0x00,0x00,0x91]

s_ashr_i32 s0, vcc_lo, s0
// GFX13: s_ashr_i32 s0, vcc_lo, s0               ; encoding: [0x6a,0x00,0x00,0x91]

s_ashr_i32 s0, exec_lo, s0
// GFX13: s_ashr_i32 s0, exec_lo, s0              ; encoding: [0x7e,0x00,0x00,0x91]

s_ashr_i32 s0, m0, s0
// GFX13: s_ashr_i32 s0, m0, s0                   ; encoding: [0x7d,0x00,0x00,0x91]

s_ashr_i32 s0, null, s0
// GFX13: s_ashr_i32 s0, null, s0                 ; encoding: [0x7c,0x00,0x00,0x91]

s_ashr_i32 s0, 0, s0
// GFX13: s_ashr_i32 s0, 0, s0                    ; encoding: [0x80,0x00,0x00,0x91]

s_ashr_i32 s0, 0.5, s0
// GFX13: s_ashr_i32 s0, 0.5, s0                  ; encoding: [0xf0,0x00,0x00,0x91]

s_ashr_i32 s0, 0x12345678, s0
// GFX13: s_ashr_i32 s0, 0x12345678, s0           ; encoding: [0xff,0x00,0x00,0x91,0x78,0x56,0x34,0x12]

s_ashr_i32 s0, s0, s105
// GFX13: s_ashr_i32 s0, s0, s105                 ; encoding: [0x00,0x69,0x00,0x91]

s_ashr_i32 s0, s0, vcc_lo
// GFX13: s_ashr_i32 s0, s0, vcc_lo               ; encoding: [0x00,0x6a,0x00,0x91]

s_ashr_i32 s0, s0, exec_lo
// GFX13: s_ashr_i32 s0, s0, exec_lo              ; encoding: [0x00,0x7e,0x00,0x91]

s_ashr_i32 s0, s0, m0
// GFX13: s_ashr_i32 s0, s0, m0                   ; encoding: [0x00,0x7d,0x00,0x91]

s_ashr_i32 s0, s0, null
// GFX13: s_ashr_i32 s0, s0, null                 ; encoding: [0x00,0x7c,0x00,0x91]

s_ashr_i32 s0, s0, 0
// GFX13: s_ashr_i32 s0, s0, 0                    ; encoding: [0x00,0x80,0x00,0x91]

s_ashr_i32 s0, s0, 0.5
// GFX13: s_ashr_i32 s0, s0, 0.5                  ; encoding: [0x00,0xf0,0x00,0x91]

s_ashr_i32 s0, s0, 0x12345678
// GFX13: s_ashr_i32 s0, s0, 0x12345678           ; encoding: [0x00,0xff,0x00,0x91,0x78,0x56,0x34,0x12]

s_ashr_i64 s[0:1], s[0:1], s0
// GFX13: s_ashr_i64 s[0:1], s[0:1], s0           ; encoding: [0x00,0x00,0x80,0x91]

s_ashr_i64 s[104:105], s[0:1], s0
// GFX13: s_ashr_i64 s[104:105], s[0:1], s0       ; encoding: [0x00,0x00,0xe8,0x91]

s_ashr_i64 vcc, s[0:1], s0
// GFX13: s_ashr_i64 vcc, s[0:1], s0              ; encoding: [0x00,0x00,0xea,0x91]

s_ashr_i64 exec, s[0:1], s0
// GFX13: s_ashr_i64 exec, s[0:1], s0             ; encoding: [0x00,0x00,0xfe,0x91]

s_ashr_i64 null, s[0:1], s0
// GFX13: s_ashr_i64 null, s[0:1], s0             ; encoding: [0x00,0x00,0xfc,0x91]

s_ashr_i64 s[0:1], s[104:105], s0
// GFX13: s_ashr_i64 s[0:1], s[104:105], s0       ; encoding: [0x68,0x00,0x80,0x91]

s_ashr_i64 s[0:1], vcc, s0
// GFX13: s_ashr_i64 s[0:1], vcc, s0              ; encoding: [0x6a,0x00,0x80,0x91]

s_ashr_i64 s[0:1], exec, s0
// GFX13: s_ashr_i64 s[0:1], exec, s0             ; encoding: [0x7e,0x00,0x80,0x91]

s_ashr_i64 s[0:1], null, s0
// GFX13: s_ashr_i64 s[0:1], null, s0             ; encoding: [0x7c,0x00,0x80,0x91]

s_ashr_i64 s[0:1], 0, s0
// GFX13: s_ashr_i64 s[0:1], 0, s0                ; encoding: [0x80,0x00,0x80,0x91]

s_ashr_i64 s[0:1], 0.5, s0
// GFX13: s_ashr_i64 s[0:1], 0.5, s0              ; encoding: [0xf0,0x00,0x80,0x91]

s_ashr_i64 s[0:1], 0x123456789abcdef0, s0
// GFX13: s_ashr_i64 s[0:1], 0x123456789abcdef0, s0 ; encoding: [0xfe,0x00,0x80,0x91,0xf0,0xde,0xbc,0x9a,0x78,0x56,0x34,0x12]

s_ashr_i64 s[0:1], s[0:1], s105
// GFX13: s_ashr_i64 s[0:1], s[0:1], s105         ; encoding: [0x00,0x69,0x80,0x91]

s_ashr_i64 s[0:1], s[0:1], vcc_lo
// GFX13: s_ashr_i64 s[0:1], s[0:1], vcc_lo       ; encoding: [0x00,0x6a,0x80,0x91]

s_ashr_i64 s[0:1], s[0:1], exec_lo
// GFX13: s_ashr_i64 s[0:1], s[0:1], exec_lo      ; encoding: [0x00,0x7e,0x80,0x91]

s_ashr_i64 s[0:1], s[0:1], m0
// GFX13: s_ashr_i64 s[0:1], s[0:1], m0           ; encoding: [0x00,0x7d,0x80,0x91]

s_ashr_i64 s[0:1], s[0:1], null
// GFX13: s_ashr_i64 s[0:1], s[0:1], null         ; encoding: [0x00,0x7c,0x80,0x91]

s_ashr_i64 s[0:1], s[0:1], 0
// GFX13: s_ashr_i64 s[0:1], s[0:1], 0            ; encoding: [0x00,0x80,0x80,0x91]

s_ashr_i64 s[0:1], s[0:1], 0.5
// GFX13: s_ashr_i64 s[0:1], s[0:1], 0.5          ; encoding: [0x00,0xf0,0x80,0x91]

s_ashr_i64 s[0:1], s[0:1], 0x12345678
// GFX13: s_ashr_i64 s[0:1], s[0:1], 0x12345678   ; encoding: [0x00,0xff,0x80,0x91,0x78,0x56,0x34,0x12]

s_bfm_b32 s0, s0, s0
// GFX13: s_bfm_b32 s0, s0, s0                    ; encoding: [0x00,0x00,0x00,0x92]

s_bfm_b32 s105, s0, s0
// GFX13: s_bfm_b32 s105, s0, s0                  ; encoding: [0x00,0x00,0x69,0x92]

s_bfm_b32 vcc_lo, s0, s0
// GFX13: s_bfm_b32 vcc_lo, s0, s0                ; encoding: [0x00,0x00,0x6a,0x92]

s_bfm_b32 exec_lo, s0, s0
// GFX13: s_bfm_b32 exec_lo, s0, s0               ; encoding: [0x00,0x00,0x7e,0x92]

s_bfm_b32 m0, s0, s0
// GFX13: s_bfm_b32 m0, s0, s0                    ; encoding: [0x00,0x00,0x7d,0x92]

s_bfm_b32 null, s0, s0
// GFX13: s_bfm_b32 null, s0, s0                  ; encoding: [0x00,0x00,0x7c,0x92]

s_bfm_b32 s0, s105, s0
// GFX13: s_bfm_b32 s0, s105, s0                  ; encoding: [0x69,0x00,0x00,0x92]

s_bfm_b32 s0, vcc_lo, s0
// GFX13: s_bfm_b32 s0, vcc_lo, s0                ; encoding: [0x6a,0x00,0x00,0x92]

s_bfm_b32 s0, exec_lo, s0
// GFX13: s_bfm_b32 s0, exec_lo, s0               ; encoding: [0x7e,0x00,0x00,0x92]

s_bfm_b32 s0, m0, s0
// GFX13: s_bfm_b32 s0, m0, s0                    ; encoding: [0x7d,0x00,0x00,0x92]

s_bfm_b32 s0, null, s0
// GFX13: s_bfm_b32 s0, null, s0                  ; encoding: [0x7c,0x00,0x00,0x92]

s_bfm_b32 s0, 0, s0
// GFX13: s_bfm_b32 s0, 0, s0                     ; encoding: [0x80,0x00,0x00,0x92]

s_bfm_b32 s0, 0.5, s0
// GFX13: s_bfm_b32 s0, 0.5, s0                   ; encoding: [0xf0,0x00,0x00,0x92]

s_bfm_b32 s0, 0x12345678, s0
// GFX13: s_bfm_b32 s0, 0x12345678, s0            ; encoding: [0xff,0x00,0x00,0x92,0x78,0x56,0x34,0x12]

s_bfm_b32 s0, s0, s105
// GFX13: s_bfm_b32 s0, s0, s105                  ; encoding: [0x00,0x69,0x00,0x92]

s_bfm_b32 s0, s0, vcc_lo
// GFX13: s_bfm_b32 s0, s0, vcc_lo                ; encoding: [0x00,0x6a,0x00,0x92]

s_bfm_b32 s0, s0, exec_lo
// GFX13: s_bfm_b32 s0, s0, exec_lo               ; encoding: [0x00,0x7e,0x00,0x92]

s_bfm_b32 s0, s0, m0
// GFX13: s_bfm_b32 s0, s0, m0                    ; encoding: [0x00,0x7d,0x00,0x92]

s_bfm_b32 s0, s0, null
// GFX13: s_bfm_b32 s0, s0, null                  ; encoding: [0x00,0x7c,0x00,0x92]

s_bfm_b32 s0, s0, 0
// GFX13: s_bfm_b32 s0, s0, 0                     ; encoding: [0x00,0x80,0x00,0x92]

s_bfm_b32 s0, s0, 0.5
// GFX13: s_bfm_b32 s0, s0, 0.5                   ; encoding: [0x00,0xf0,0x00,0x92]

s_bfm_b32 s0, s0, 0x12345678
// GFX13: s_bfm_b32 s0, s0, 0x12345678            ; encoding: [0x00,0xff,0x00,0x92,0x78,0x56,0x34,0x12]

s_bfm_b64 s[0:1], s0, s0
// GFX13: s_bfm_b64 s[0:1], s0, s0                ; encoding: [0x00,0x00,0x80,0x92]

s_bfm_b64 s[104:105], s0, s0
// GFX13: s_bfm_b64 s[104:105], s0, s0            ; encoding: [0x00,0x00,0xe8,0x92]

s_bfm_b64 vcc, s0, s0
// GFX13: s_bfm_b64 vcc, s0, s0                   ; encoding: [0x00,0x00,0xea,0x92]

s_bfm_b64 exec, s0, s0
// GFX13: s_bfm_b64 exec, s0, s0                  ; encoding: [0x00,0x00,0xfe,0x92]

s_bfm_b64 null, s0, s0
// GFX13: s_bfm_b64 null, s0, s0                  ; encoding: [0x00,0x00,0xfc,0x92]

s_bfm_b64 s[0:1], s105, s0
// GFX13: s_bfm_b64 s[0:1], s105, s0              ; encoding: [0x69,0x00,0x80,0x92]

s_bfm_b64 s[0:1], vcc_lo, s0
// GFX13: s_bfm_b64 s[0:1], vcc_lo, s0            ; encoding: [0x6a,0x00,0x80,0x92]

s_bfm_b64 s[0:1], exec_lo, s0
// GFX13: s_bfm_b64 s[0:1], exec_lo, s0           ; encoding: [0x7e,0x00,0x80,0x92]

s_bfm_b64 s[0:1], m0, s0
// GFX13: s_bfm_b64 s[0:1], m0, s0                ; encoding: [0x7d,0x00,0x80,0x92]

s_bfm_b64 s[0:1], null, s0
// GFX13: s_bfm_b64 s[0:1], null, s0              ; encoding: [0x7c,0x00,0x80,0x92]

s_bfm_b64 s[0:1], 0, s0
// GFX13: s_bfm_b64 s[0:1], 0, s0                 ; encoding: [0x80,0x00,0x80,0x92]

s_bfm_b64 s[0:1], 0.5, s0
// GFX13: s_bfm_b64 s[0:1], 0.5, s0               ; encoding: [0xf0,0x00,0x80,0x92]

s_bfm_b64 s[0:1], 0x12345678, s0
// GFX13: s_bfm_b64 s[0:1], 0x12345678, s0        ; encoding: [0xff,0x00,0x80,0x92,0x78,0x56,0x34,0x12]

s_bfm_b64 s[0:1], s0, s105
// GFX13: s_bfm_b64 s[0:1], s0, s105              ; encoding: [0x00,0x69,0x80,0x92]

s_bfm_b64 s[0:1], s0, vcc_lo
// GFX13: s_bfm_b64 s[0:1], s0, vcc_lo            ; encoding: [0x00,0x6a,0x80,0x92]

s_bfm_b64 s[0:1], s0, exec_lo
// GFX13: s_bfm_b64 s[0:1], s0, exec_lo           ; encoding: [0x00,0x7e,0x80,0x92]

s_bfm_b64 s[0:1], s0, m0
// GFX13: s_bfm_b64 s[0:1], s0, m0                ; encoding: [0x00,0x7d,0x80,0x92]

s_bfm_b64 s[0:1], s0, null
// GFX13: s_bfm_b64 s[0:1], s0, null              ; encoding: [0x00,0x7c,0x80,0x92]

s_bfm_b64 s[0:1], s0, 0
// GFX13: s_bfm_b64 s[0:1], s0, 0                 ; encoding: [0x00,0x80,0x80,0x92]

s_bfm_b64 s[0:1], s0, 0.5
// GFX13: s_bfm_b64 s[0:1], s0, 0.5               ; encoding: [0x00,0xf0,0x80,0x92]

s_bfm_b64 s[0:1], s0, 0x12345678
// GFX13: s_bfm_b64 s[0:1], s0, 0x12345678        ; encoding: [0x00,0xff,0x80,0x92,0x78,0x56,0x34,0x12]

s_mul_i32 s0, s0, s0
// GFX13: s_mul_i32 s0, s0, s0                    ; encoding: [0x00,0x00,0x00,0x93]

s_mul_i32 s105, s0, s0
// GFX13: s_mul_i32 s105, s0, s0                  ; encoding: [0x00,0x00,0x69,0x93]

s_mul_i32 vcc_lo, s0, s0
// GFX13: s_mul_i32 vcc_lo, s0, s0                ; encoding: [0x00,0x00,0x6a,0x93]

s_mul_i32 exec_lo, s0, s0
// GFX13: s_mul_i32 exec_lo, s0, s0               ; encoding: [0x00,0x00,0x7e,0x93]

s_mul_i32 m0, s0, s0
// GFX13: s_mul_i32 m0, s0, s0                    ; encoding: [0x00,0x00,0x7d,0x93]

s_mul_i32 null, s0, s0
// GFX13: s_mul_i32 null, s0, s0                  ; encoding: [0x00,0x00,0x7c,0x93]

s_mul_i32 s0, s105, s0
// GFX13: s_mul_i32 s0, s105, s0                  ; encoding: [0x69,0x00,0x00,0x93]

s_mul_i32 s0, vcc_lo, s0
// GFX13: s_mul_i32 s0, vcc_lo, s0                ; encoding: [0x6a,0x00,0x00,0x93]

s_mul_i32 s0, exec_lo, s0
// GFX13: s_mul_i32 s0, exec_lo, s0               ; encoding: [0x7e,0x00,0x00,0x93]

s_mul_i32 s0, m0, s0
// GFX13: s_mul_i32 s0, m0, s0                    ; encoding: [0x7d,0x00,0x00,0x93]

s_mul_i32 s0, null, s0
// GFX13: s_mul_i32 s0, null, s0                  ; encoding: [0x7c,0x00,0x00,0x93]

s_mul_i32 s0, 0, s0
// GFX13: s_mul_i32 s0, 0, s0                     ; encoding: [0x80,0x00,0x00,0x93]

s_mul_i32 s0, 0.5, s0
// GFX13: s_mul_i32 s0, 0.5, s0                   ; encoding: [0xf0,0x00,0x00,0x93]

s_mul_i32 s0, 0x12345678, s0
// GFX13: s_mul_i32 s0, 0x12345678, s0            ; encoding: [0xff,0x00,0x00,0x93,0x78,0x56,0x34,0x12]

s_mul_i32 s0, s0, s105
// GFX13: s_mul_i32 s0, s0, s105                  ; encoding: [0x00,0x69,0x00,0x93]

s_mul_i32 s0, s0, vcc_lo
// GFX13: s_mul_i32 s0, s0, vcc_lo                ; encoding: [0x00,0x6a,0x00,0x93]

s_mul_i32 s0, s0, exec_lo
// GFX13: s_mul_i32 s0, s0, exec_lo               ; encoding: [0x00,0x7e,0x00,0x93]

s_mul_i32 s0, s0, m0
// GFX13: s_mul_i32 s0, s0, m0                    ; encoding: [0x00,0x7d,0x00,0x93]

s_mul_i32 s0, s0, null
// GFX13: s_mul_i32 s0, s0, null                  ; encoding: [0x00,0x7c,0x00,0x93]

s_mul_i32 s0, s0, 0
// GFX13: s_mul_i32 s0, s0, 0                     ; encoding: [0x00,0x80,0x00,0x93]

s_mul_i32 s0, s0, 0.5
// GFX13: s_mul_i32 s0, s0, 0.5                   ; encoding: [0x00,0xf0,0x00,0x93]

s_mul_i32 s0, s0, 0x12345678
// GFX13: s_mul_i32 s0, s0, 0x12345678            ; encoding: [0x00,0xff,0x00,0x93,0x78,0x56,0x34,0x12]

s_bfe_u32 s0, s0, s0
// GFX13: s_bfe_u32 s0, s0, s0                    ; encoding: [0x00,0x00,0x80,0x93]

s_bfe_u32 s105, s0, s0
// GFX13: s_bfe_u32 s105, s0, s0                  ; encoding: [0x00,0x00,0xe9,0x93]

s_bfe_u32 vcc_lo, s0, s0
// GFX13: s_bfe_u32 vcc_lo, s0, s0                ; encoding: [0x00,0x00,0xea,0x93]

s_bfe_u32 exec_lo, s0, s0
// GFX13: s_bfe_u32 exec_lo, s0, s0               ; encoding: [0x00,0x00,0xfe,0x93]

s_bfe_u32 m0, s0, s0
// GFX13: s_bfe_u32 m0, s0, s0                    ; encoding: [0x00,0x00,0xfd,0x93]

s_bfe_u32 null, s0, s0
// GFX13: s_bfe_u32 null, s0, s0                  ; encoding: [0x00,0x00,0xfc,0x93]

s_bfe_u32 s0, s105, s0
// GFX13: s_bfe_u32 s0, s105, s0                  ; encoding: [0x69,0x00,0x80,0x93]

s_bfe_u32 s0, vcc_lo, s0
// GFX13: s_bfe_u32 s0, vcc_lo, s0                ; encoding: [0x6a,0x00,0x80,0x93]

s_bfe_u32 s0, exec_lo, s0
// GFX13: s_bfe_u32 s0, exec_lo, s0               ; encoding: [0x7e,0x00,0x80,0x93]

s_bfe_u32 s0, m0, s0
// GFX13: s_bfe_u32 s0, m0, s0                    ; encoding: [0x7d,0x00,0x80,0x93]

s_bfe_u32 s0, null, s0
// GFX13: s_bfe_u32 s0, null, s0                  ; encoding: [0x7c,0x00,0x80,0x93]

s_bfe_u32 s0, 0, s0
// GFX13: s_bfe_u32 s0, 0, s0                     ; encoding: [0x80,0x00,0x80,0x93]

s_bfe_u32 s0, 0.5, s0
// GFX13: s_bfe_u32 s0, 0.5, s0                   ; encoding: [0xf0,0x00,0x80,0x93]

s_bfe_u32 s0, 0x12345678, s0
// GFX13: s_bfe_u32 s0, 0x12345678, s0            ; encoding: [0xff,0x00,0x80,0x93,0x78,0x56,0x34,0x12]

s_bfe_u32 s0, s0, s105
// GFX13: s_bfe_u32 s0, s0, s105                  ; encoding: [0x00,0x69,0x80,0x93]

s_bfe_u32 s0, s0, vcc_lo
// GFX13: s_bfe_u32 s0, s0, vcc_lo                ; encoding: [0x00,0x6a,0x80,0x93]

s_bfe_u32 s0, s0, exec_lo
// GFX13: s_bfe_u32 s0, s0, exec_lo               ; encoding: [0x00,0x7e,0x80,0x93]

s_bfe_u32 s0, s0, m0
// GFX13: s_bfe_u32 s0, s0, m0                    ; encoding: [0x00,0x7d,0x80,0x93]

s_bfe_u32 s0, s0, null
// GFX13: s_bfe_u32 s0, s0, null                  ; encoding: [0x00,0x7c,0x80,0x93]

s_bfe_u32 s0, s0, 0
// GFX13: s_bfe_u32 s0, s0, 0                     ; encoding: [0x00,0x80,0x80,0x93]

s_bfe_u32 s0, s0, 0.5
// GFX13: s_bfe_u32 s0, s0, 0.5                   ; encoding: [0x00,0xf0,0x80,0x93]

s_bfe_u32 s0, s0, 0x12345678
// GFX13: s_bfe_u32 s0, s0, 0x12345678            ; encoding: [0x00,0xff,0x80,0x93,0x78,0x56,0x34,0x12]

s_bfe_i32 s0, s0, s0
// GFX13: s_bfe_i32 s0, s0, s0                    ; encoding: [0x00,0x00,0x00,0x94]

s_bfe_i32 s105, s0, s0
// GFX13: s_bfe_i32 s105, s0, s0                  ; encoding: [0x00,0x00,0x69,0x94]

s_bfe_i32 vcc_lo, s0, s0
// GFX13: s_bfe_i32 vcc_lo, s0, s0                ; encoding: [0x00,0x00,0x6a,0x94]

s_bfe_i32 exec_lo, s0, s0
// GFX13: s_bfe_i32 exec_lo, s0, s0               ; encoding: [0x00,0x00,0x7e,0x94]

s_bfe_i32 m0, s0, s0
// GFX13: s_bfe_i32 m0, s0, s0                    ; encoding: [0x00,0x00,0x7d,0x94]

s_bfe_i32 null, s0, s0
// GFX13: s_bfe_i32 null, s0, s0                  ; encoding: [0x00,0x00,0x7c,0x94]

s_bfe_i32 s0, s105, s0
// GFX13: s_bfe_i32 s0, s105, s0                  ; encoding: [0x69,0x00,0x00,0x94]

s_bfe_i32 s0, vcc_lo, s0
// GFX13: s_bfe_i32 s0, vcc_lo, s0                ; encoding: [0x6a,0x00,0x00,0x94]

s_bfe_i32 s0, exec_lo, s0
// GFX13: s_bfe_i32 s0, exec_lo, s0               ; encoding: [0x7e,0x00,0x00,0x94]

s_bfe_i32 s0, m0, s0
// GFX13: s_bfe_i32 s0, m0, s0                    ; encoding: [0x7d,0x00,0x00,0x94]

s_bfe_i32 s0, null, s0
// GFX13: s_bfe_i32 s0, null, s0                  ; encoding: [0x7c,0x00,0x00,0x94]

s_bfe_i32 s0, 0, s0
// GFX13: s_bfe_i32 s0, 0, s0                     ; encoding: [0x80,0x00,0x00,0x94]

s_bfe_i32 s0, 0.5, s0
// GFX13: s_bfe_i32 s0, 0.5, s0                   ; encoding: [0xf0,0x00,0x00,0x94]

s_bfe_i32 s0, 0x12345678, s0
// GFX13: s_bfe_i32 s0, 0x12345678, s0            ; encoding: [0xff,0x00,0x00,0x94,0x78,0x56,0x34,0x12]

s_bfe_i32 s0, s0, s105
// GFX13: s_bfe_i32 s0, s0, s105                  ; encoding: [0x00,0x69,0x00,0x94]

s_bfe_i32 s0, s0, vcc_lo
// GFX13: s_bfe_i32 s0, s0, vcc_lo                ; encoding: [0x00,0x6a,0x00,0x94]

s_bfe_i32 s0, s0, exec_lo
// GFX13: s_bfe_i32 s0, s0, exec_lo               ; encoding: [0x00,0x7e,0x00,0x94]

s_bfe_i32 s0, s0, m0
// GFX13: s_bfe_i32 s0, s0, m0                    ; encoding: [0x00,0x7d,0x00,0x94]

s_bfe_i32 s0, s0, null
// GFX13: s_bfe_i32 s0, s0, null                  ; encoding: [0x00,0x7c,0x00,0x94]

s_bfe_i32 s0, s0, 0
// GFX13: s_bfe_i32 s0, s0, 0                     ; encoding: [0x00,0x80,0x00,0x94]

s_bfe_i32 s0, s0, 0.5
// GFX13: s_bfe_i32 s0, s0, 0.5                   ; encoding: [0x00,0xf0,0x00,0x94]

s_bfe_i32 s0, s0, 0x12345678
// GFX13: s_bfe_i32 s0, s0, 0x12345678            ; encoding: [0x00,0xff,0x00,0x94,0x78,0x56,0x34,0x12]

s_bfe_u64 s[0:1], s[0:1], s0
// GFX13: s_bfe_u64 s[0:1], s[0:1], s0            ; encoding: [0x00,0x00,0x80,0x94]

s_bfe_u64 s[104:105], s[0:1], s0
// GFX13: s_bfe_u64 s[104:105], s[0:1], s0        ; encoding: [0x00,0x00,0xe8,0x94]

s_bfe_u64 vcc, s[0:1], s0
// GFX13: s_bfe_u64 vcc, s[0:1], s0               ; encoding: [0x00,0x00,0xea,0x94]

s_bfe_u64 exec, s[0:1], s0
// GFX13: s_bfe_u64 exec, s[0:1], s0              ; encoding: [0x00,0x00,0xfe,0x94]

s_bfe_u64 null, s[0:1], s0
// GFX13: s_bfe_u64 null, s[0:1], s0              ; encoding: [0x00,0x00,0xfc,0x94]

s_bfe_u64 s[0:1], s[104:105], s0
// GFX13: s_bfe_u64 s[0:1], s[104:105], s0        ; encoding: [0x68,0x00,0x80,0x94]

s_bfe_u64 s[0:1], vcc, s0
// GFX13: s_bfe_u64 s[0:1], vcc, s0               ; encoding: [0x6a,0x00,0x80,0x94]

s_bfe_u64 s[0:1], exec, s0
// GFX13: s_bfe_u64 s[0:1], exec, s0              ; encoding: [0x7e,0x00,0x80,0x94]

s_bfe_u64 s[0:1], null, s0
// GFX13: s_bfe_u64 s[0:1], null, s0              ; encoding: [0x7c,0x00,0x80,0x94]

s_bfe_u64 s[0:1], 0, s0
// GFX13: s_bfe_u64 s[0:1], 0, s0                 ; encoding: [0x80,0x00,0x80,0x94]

s_bfe_u64 s[0:1], 0.5, s0
// GFX13: s_bfe_u64 s[0:1], 0.5, s0               ; encoding: [0xf0,0x00,0x80,0x94]

s_bfe_u64 s[0:1], 0x123456789abcdef0, s0
// GFX13: s_bfe_u64 s[0:1], 0x123456789abcdef0, s0 ; encoding: [0xfe,0x00,0x80,0x94,0xf0,0xde,0xbc,0x9a,0x78,0x56,0x34,0x12]

s_bfe_u64 s[0:1], s[0:1], s105
// GFX13: s_bfe_u64 s[0:1], s[0:1], s105          ; encoding: [0x00,0x69,0x80,0x94]

s_bfe_u64 s[0:1], s[0:1], vcc_lo
// GFX13: s_bfe_u64 s[0:1], s[0:1], vcc_lo        ; encoding: [0x00,0x6a,0x80,0x94]

s_bfe_u64 s[0:1], s[0:1], exec_lo
// GFX13: s_bfe_u64 s[0:1], s[0:1], exec_lo       ; encoding: [0x00,0x7e,0x80,0x94]

s_bfe_u64 s[0:1], s[0:1], m0
// GFX13: s_bfe_u64 s[0:1], s[0:1], m0            ; encoding: [0x00,0x7d,0x80,0x94]

s_bfe_u64 s[0:1], s[0:1], null
// GFX13: s_bfe_u64 s[0:1], s[0:1], null          ; encoding: [0x00,0x7c,0x80,0x94]

s_bfe_u64 s[0:1], s[0:1], 0
// GFX13: s_bfe_u64 s[0:1], s[0:1], 0             ; encoding: [0x00,0x80,0x80,0x94]

s_bfe_u64 s[0:1], s[0:1], 0.5
// GFX13: s_bfe_u64 s[0:1], s[0:1], 0.5           ; encoding: [0x00,0xf0,0x80,0x94]

s_bfe_u64 s[0:1], s[0:1], 0x12345678
// GFX13: s_bfe_u64 s[0:1], s[0:1], 0x12345678    ; encoding: [0x00,0xff,0x80,0x94,0x78,0x56,0x34,0x12]

s_bfe_i64 s[0:1], s[0:1], s0
// GFX13: s_bfe_i64 s[0:1], s[0:1], s0            ; encoding: [0x00,0x00,0x00,0x95]

s_bfe_i64 s[104:105], s[0:1], s0
// GFX13: s_bfe_i64 s[104:105], s[0:1], s0        ; encoding: [0x00,0x00,0x68,0x95]

s_bfe_i64 vcc, s[0:1], s0
// GFX13: s_bfe_i64 vcc, s[0:1], s0               ; encoding: [0x00,0x00,0x6a,0x95]

s_bfe_i64 exec, s[0:1], s0
// GFX13: s_bfe_i64 exec, s[0:1], s0              ; encoding: [0x00,0x00,0x7e,0x95]

s_bfe_i64 null, s[0:1], s0
// GFX13: s_bfe_i64 null, s[0:1], s0              ; encoding: [0x00,0x00,0x7c,0x95]

s_bfe_i64 s[0:1], s[104:105], s0
// GFX13: s_bfe_i64 s[0:1], s[104:105], s0        ; encoding: [0x68,0x00,0x00,0x95]

s_bfe_i64 s[0:1], vcc, s0
// GFX13: s_bfe_i64 s[0:1], vcc, s0               ; encoding: [0x6a,0x00,0x00,0x95]

s_bfe_i64 s[0:1], exec, s0
// GFX13: s_bfe_i64 s[0:1], exec, s0              ; encoding: [0x7e,0x00,0x00,0x95]

s_bfe_i64 s[0:1], null, s0
// GFX13: s_bfe_i64 s[0:1], null, s0              ; encoding: [0x7c,0x00,0x00,0x95]

s_bfe_i64 s[0:1], 0, s0
// GFX13: s_bfe_i64 s[0:1], 0, s0                 ; encoding: [0x80,0x00,0x00,0x95]

s_bfe_i64 s[0:1], 0.5, s0
// GFX13: s_bfe_i64 s[0:1], 0.5, s0               ; encoding: [0xf0,0x00,0x00,0x95]

s_bfe_i64 s[0:1], 0x123456789abcdef0, s0
// GFX13: s_bfe_i64 s[0:1], 0x123456789abcdef0, s0 ; encoding: [0xfe,0x00,0x00,0x95,0xf0,0xde,0xbc,0x9a,0x78,0x56,0x34,0x12]

s_bfe_i64 s[0:1], s[0:1], s105
// GFX13: s_bfe_i64 s[0:1], s[0:1], s105          ; encoding: [0x00,0x69,0x00,0x95]

s_bfe_i64 s[0:1], s[0:1], vcc_lo
// GFX13: s_bfe_i64 s[0:1], s[0:1], vcc_lo        ; encoding: [0x00,0x6a,0x00,0x95]

s_bfe_i64 s[0:1], s[0:1], exec_lo
// GFX13: s_bfe_i64 s[0:1], s[0:1], exec_lo       ; encoding: [0x00,0x7e,0x00,0x95]

s_bfe_i64 s[0:1], s[0:1], m0
// GFX13: s_bfe_i64 s[0:1], s[0:1], m0            ; encoding: [0x00,0x7d,0x00,0x95]

s_bfe_i64 s[0:1], s[0:1], null
// GFX13: s_bfe_i64 s[0:1], s[0:1], null          ; encoding: [0x00,0x7c,0x00,0x95]

s_bfe_i64 s[0:1], s[0:1], 0
// GFX13: s_bfe_i64 s[0:1], s[0:1], 0             ; encoding: [0x00,0x80,0x00,0x95]

s_bfe_i64 s[0:1], s[0:1], 0.5
// GFX13: s_bfe_i64 s[0:1], s[0:1], 0.5           ; encoding: [0x00,0xf0,0x00,0x95]

s_bfe_i64 s[0:1], s[0:1], 0x12345678
// GFX13: s_bfe_i64 s[0:1], s[0:1], 0x12345678    ; encoding: [0x00,0xff,0x00,0x95,0x78,0x56,0x34,0x12]

s_absdiff_i32 s0, s0, s0
// GFX13: s_absdiff_i32 s0, s0, s0                ; encoding: [0x00,0x00,0x00,0x96]

s_absdiff_i32 s105, s0, s0
// GFX13: s_absdiff_i32 s105, s0, s0              ; encoding: [0x00,0x00,0x69,0x96]

s_absdiff_i32 vcc_lo, s0, s0
// GFX13: s_absdiff_i32 vcc_lo, s0, s0            ; encoding: [0x00,0x00,0x6a,0x96]

s_absdiff_i32 exec_lo, s0, s0
// GFX13: s_absdiff_i32 exec_lo, s0, s0           ; encoding: [0x00,0x00,0x7e,0x96]

s_absdiff_i32 m0, s0, s0
// GFX13: s_absdiff_i32 m0, s0, s0                ; encoding: [0x00,0x00,0x7d,0x96]

s_absdiff_i32 null, s0, s0
// GFX13: s_absdiff_i32 null, s0, s0              ; encoding: [0x00,0x00,0x7c,0x96]

s_absdiff_i32 s0, s105, s0
// GFX13: s_absdiff_i32 s0, s105, s0              ; encoding: [0x69,0x00,0x00,0x96]

s_absdiff_i32 s0, vcc_lo, s0
// GFX13: s_absdiff_i32 s0, vcc_lo, s0            ; encoding: [0x6a,0x00,0x00,0x96]

s_absdiff_i32 s0, exec_lo, s0
// GFX13: s_absdiff_i32 s0, exec_lo, s0           ; encoding: [0x7e,0x00,0x00,0x96]

s_absdiff_i32 s0, m0, s0
// GFX13: s_absdiff_i32 s0, m0, s0                ; encoding: [0x7d,0x00,0x00,0x96]

s_absdiff_i32 s0, null, s0
// GFX13: s_absdiff_i32 s0, null, s0              ; encoding: [0x7c,0x00,0x00,0x96]

s_absdiff_i32 s0, 0, s0
// GFX13: s_absdiff_i32 s0, 0, s0                 ; encoding: [0x80,0x00,0x00,0x96]

s_absdiff_i32 s0, 0.5, s0
// GFX13: s_absdiff_i32 s0, 0.5, s0               ; encoding: [0xf0,0x00,0x00,0x96]

s_absdiff_i32 s0, 0x12345678, s0
// GFX13: s_absdiff_i32 s0, 0x12345678, s0        ; encoding: [0xff,0x00,0x00,0x96,0x78,0x56,0x34,0x12]

s_absdiff_i32 s0, s0, s105
// GFX13: s_absdiff_i32 s0, s0, s105              ; encoding: [0x00,0x69,0x00,0x96]

s_absdiff_i32 s0, s0, vcc_lo
// GFX13: s_absdiff_i32 s0, s0, vcc_lo            ; encoding: [0x00,0x6a,0x00,0x96]

s_absdiff_i32 s0, s0, exec_lo
// GFX13: s_absdiff_i32 s0, s0, exec_lo           ; encoding: [0x00,0x7e,0x00,0x96]

s_absdiff_i32 s0, s0, m0
// GFX13: s_absdiff_i32 s0, s0, m0                ; encoding: [0x00,0x7d,0x00,0x96]

s_absdiff_i32 s0, s0, null
// GFX13: s_absdiff_i32 s0, s0, null              ; encoding: [0x00,0x7c,0x00,0x96]

s_absdiff_i32 s0, s0, 0
// GFX13: s_absdiff_i32 s0, s0, 0                 ; encoding: [0x00,0x80,0x00,0x96]

s_absdiff_i32 s0, s0, 0.5
// GFX13: s_absdiff_i32 s0, s0, 0.5               ; encoding: [0x00,0xf0,0x00,0x96]

s_absdiff_i32 s0, s0, 0x12345678
// GFX13: s_absdiff_i32 s0, s0, 0x12345678        ; encoding: [0x00,0xff,0x00,0x96,0x78,0x56,0x34,0x12]

s_lshl1_add_u32 s0, s0, s0
// GFX13: s_lshl1_add_u32 s0, s0, s0              ; encoding: [0x00,0x00,0x00,0x97]

s_lshl1_add_u32 s105, s0, s0
// GFX13: s_lshl1_add_u32 s105, s0, s0            ; encoding: [0x00,0x00,0x69,0x97]

s_lshl1_add_u32 vcc_lo, s0, s0
// GFX13: s_lshl1_add_u32 vcc_lo, s0, s0          ; encoding: [0x00,0x00,0x6a,0x97]

s_lshl1_add_u32 exec_lo, s0, s0
// GFX13: s_lshl1_add_u32 exec_lo, s0, s0         ; encoding: [0x00,0x00,0x7e,0x97]

s_lshl1_add_u32 m0, s0, s0
// GFX13: s_lshl1_add_u32 m0, s0, s0              ; encoding: [0x00,0x00,0x7d,0x97]

s_lshl1_add_u32 null, s0, s0
// GFX13: s_lshl1_add_u32 null, s0, s0            ; encoding: [0x00,0x00,0x7c,0x97]

s_lshl1_add_u32 s0, s105, s0
// GFX13: s_lshl1_add_u32 s0, s105, s0            ; encoding: [0x69,0x00,0x00,0x97]

s_lshl1_add_u32 s0, vcc_lo, s0
// GFX13: s_lshl1_add_u32 s0, vcc_lo, s0          ; encoding: [0x6a,0x00,0x00,0x97]

s_lshl1_add_u32 s0, exec_lo, s0
// GFX13: s_lshl1_add_u32 s0, exec_lo, s0         ; encoding: [0x7e,0x00,0x00,0x97]

s_lshl1_add_u32 s0, m0, s0
// GFX13: s_lshl1_add_u32 s0, m0, s0              ; encoding: [0x7d,0x00,0x00,0x97]

s_lshl1_add_u32 s0, null, s0
// GFX13: s_lshl1_add_u32 s0, null, s0            ; encoding: [0x7c,0x00,0x00,0x97]

s_lshl1_add_u32 s0, 0, s0
// GFX13: s_lshl1_add_u32 s0, 0, s0               ; encoding: [0x80,0x00,0x00,0x97]

s_lshl1_add_u32 s0, 0.5, s0
// GFX13: s_lshl1_add_u32 s0, 0.5, s0             ; encoding: [0xf0,0x00,0x00,0x97]

s_lshl1_add_u32 s0, 0x12345678, s0
// GFX13: s_lshl1_add_u32 s0, 0x12345678, s0      ; encoding: [0xff,0x00,0x00,0x97,0x78,0x56,0x34,0x12]

s_lshl1_add_u32 s0, s0, s105
// GFX13: s_lshl1_add_u32 s0, s0, s105            ; encoding: [0x00,0x69,0x00,0x97]

s_lshl1_add_u32 s0, s0, vcc_lo
// GFX13: s_lshl1_add_u32 s0, s0, vcc_lo          ; encoding: [0x00,0x6a,0x00,0x97]

s_lshl1_add_u32 s0, s0, exec_lo
// GFX13: s_lshl1_add_u32 s0, s0, exec_lo         ; encoding: [0x00,0x7e,0x00,0x97]

s_lshl1_add_u32 s0, s0, m0
// GFX13: s_lshl1_add_u32 s0, s0, m0              ; encoding: [0x00,0x7d,0x00,0x97]

s_lshl1_add_u32 s0, s0, null
// GFX13: s_lshl1_add_u32 s0, s0, null            ; encoding: [0x00,0x7c,0x00,0x97]

s_lshl1_add_u32 s0, s0, 0
// GFX13: s_lshl1_add_u32 s0, s0, 0               ; encoding: [0x00,0x80,0x00,0x97]

s_lshl1_add_u32 s0, s0, 0.5
// GFX13: s_lshl1_add_u32 s0, s0, 0.5             ; encoding: [0x00,0xf0,0x00,0x97]

s_lshl1_add_u32 s0, s0, 0x12345678
// GFX13: s_lshl1_add_u32 s0, s0, 0x12345678      ; encoding: [0x00,0xff,0x00,0x97,0x78,0x56,0x34,0x12]

s_lshl2_add_u32 s0, s0, s0
// GFX13: s_lshl2_add_u32 s0, s0, s0              ; encoding: [0x00,0x00,0x80,0x97]

s_lshl2_add_u32 s105, s0, s0
// GFX13: s_lshl2_add_u32 s105, s0, s0            ; encoding: [0x00,0x00,0xe9,0x97]

s_lshl2_add_u32 vcc_lo, s0, s0
// GFX13: s_lshl2_add_u32 vcc_lo, s0, s0          ; encoding: [0x00,0x00,0xea,0x97]

s_lshl2_add_u32 exec_lo, s0, s0
// GFX13: s_lshl2_add_u32 exec_lo, s0, s0         ; encoding: [0x00,0x00,0xfe,0x97]

s_lshl2_add_u32 m0, s0, s0
// GFX13: s_lshl2_add_u32 m0, s0, s0              ; encoding: [0x00,0x00,0xfd,0x97]

s_lshl2_add_u32 null, s0, s0
// GFX13: s_lshl2_add_u32 null, s0, s0            ; encoding: [0x00,0x00,0xfc,0x97]

s_lshl2_add_u32 s0, s105, s0
// GFX13: s_lshl2_add_u32 s0, s105, s0            ; encoding: [0x69,0x00,0x80,0x97]

s_lshl2_add_u32 s0, vcc_lo, s0
// GFX13: s_lshl2_add_u32 s0, vcc_lo, s0          ; encoding: [0x6a,0x00,0x80,0x97]

s_lshl2_add_u32 s0, exec_lo, s0
// GFX13: s_lshl2_add_u32 s0, exec_lo, s0         ; encoding: [0x7e,0x00,0x80,0x97]

s_lshl2_add_u32 s0, m0, s0
// GFX13: s_lshl2_add_u32 s0, m0, s0              ; encoding: [0x7d,0x00,0x80,0x97]

s_lshl2_add_u32 s0, null, s0
// GFX13: s_lshl2_add_u32 s0, null, s0            ; encoding: [0x7c,0x00,0x80,0x97]

s_lshl2_add_u32 s0, 0, s0
// GFX13: s_lshl2_add_u32 s0, 0, s0               ; encoding: [0x80,0x00,0x80,0x97]

s_lshl2_add_u32 s0, 0.5, s0
// GFX13: s_lshl2_add_u32 s0, 0.5, s0             ; encoding: [0xf0,0x00,0x80,0x97]

s_lshl2_add_u32 s0, 0x12345678, s0
// GFX13: s_lshl2_add_u32 s0, 0x12345678, s0      ; encoding: [0xff,0x00,0x80,0x97,0x78,0x56,0x34,0x12]

s_lshl2_add_u32 s0, s0, s105
// GFX13: s_lshl2_add_u32 s0, s0, s105            ; encoding: [0x00,0x69,0x80,0x97]

s_lshl2_add_u32 s0, s0, vcc_lo
// GFX13: s_lshl2_add_u32 s0, s0, vcc_lo          ; encoding: [0x00,0x6a,0x80,0x97]

s_lshl2_add_u32 s0, s0, exec_lo
// GFX13: s_lshl2_add_u32 s0, s0, exec_lo         ; encoding: [0x00,0x7e,0x80,0x97]

s_lshl2_add_u32 s0, s0, m0
// GFX13: s_lshl2_add_u32 s0, s0, m0              ; encoding: [0x00,0x7d,0x80,0x97]

s_lshl2_add_u32 s0, s0, null
// GFX13: s_lshl2_add_u32 s0, s0, null            ; encoding: [0x00,0x7c,0x80,0x97]

s_lshl2_add_u32 s0, s0, 0
// GFX13: s_lshl2_add_u32 s0, s0, 0               ; encoding: [0x00,0x80,0x80,0x97]

s_lshl2_add_u32 s0, s0, 0.5
// GFX13: s_lshl2_add_u32 s0, s0, 0.5             ; encoding: [0x00,0xf0,0x80,0x97]

s_lshl2_add_u32 s0, s0, 0x12345678
// GFX13: s_lshl2_add_u32 s0, s0, 0x12345678      ; encoding: [0x00,0xff,0x80,0x97,0x78,0x56,0x34,0x12]

s_lshl3_add_u32 s0, s0, s0
// GFX13: s_lshl3_add_u32 s0, s0, s0              ; encoding: [0x00,0x00,0x00,0x98]

s_lshl3_add_u32 s105, s0, s0
// GFX13: s_lshl3_add_u32 s105, s0, s0            ; encoding: [0x00,0x00,0x69,0x98]

s_lshl3_add_u32 vcc_lo, s0, s0
// GFX13: s_lshl3_add_u32 vcc_lo, s0, s0          ; encoding: [0x00,0x00,0x6a,0x98]

s_lshl3_add_u32 exec_lo, s0, s0
// GFX13: s_lshl3_add_u32 exec_lo, s0, s0         ; encoding: [0x00,0x00,0x7e,0x98]

s_lshl3_add_u32 m0, s0, s0
// GFX13: s_lshl3_add_u32 m0, s0, s0              ; encoding: [0x00,0x00,0x7d,0x98]

s_lshl3_add_u32 null, s0, s0
// GFX13: s_lshl3_add_u32 null, s0, s0            ; encoding: [0x00,0x00,0x7c,0x98]

s_lshl3_add_u32 s0, s105, s0
// GFX13: s_lshl3_add_u32 s0, s105, s0            ; encoding: [0x69,0x00,0x00,0x98]

s_lshl3_add_u32 s0, vcc_lo, s0
// GFX13: s_lshl3_add_u32 s0, vcc_lo, s0          ; encoding: [0x6a,0x00,0x00,0x98]

s_lshl3_add_u32 s0, exec_lo, s0
// GFX13: s_lshl3_add_u32 s0, exec_lo, s0         ; encoding: [0x7e,0x00,0x00,0x98]

s_lshl3_add_u32 s0, m0, s0
// GFX13: s_lshl3_add_u32 s0, m0, s0              ; encoding: [0x7d,0x00,0x00,0x98]

s_lshl3_add_u32 s0, null, s0
// GFX13: s_lshl3_add_u32 s0, null, s0            ; encoding: [0x7c,0x00,0x00,0x98]

s_lshl3_add_u32 s0, 0, s0
// GFX13: s_lshl3_add_u32 s0, 0, s0               ; encoding: [0x80,0x00,0x00,0x98]

s_lshl3_add_u32 s0, 0.5, s0
// GFX13: s_lshl3_add_u32 s0, 0.5, s0             ; encoding: [0xf0,0x00,0x00,0x98]

s_lshl3_add_u32 s0, 0x12345678, s0
// GFX13: s_lshl3_add_u32 s0, 0x12345678, s0      ; encoding: [0xff,0x00,0x00,0x98,0x78,0x56,0x34,0x12]

s_lshl3_add_u32 s0, s0, s105
// GFX13: s_lshl3_add_u32 s0, s0, s105            ; encoding: [0x00,0x69,0x00,0x98]

s_lshl3_add_u32 s0, s0, vcc_lo
// GFX13: s_lshl3_add_u32 s0, s0, vcc_lo          ; encoding: [0x00,0x6a,0x00,0x98]

s_lshl3_add_u32 s0, s0, exec_lo
// GFX13: s_lshl3_add_u32 s0, s0, exec_lo         ; encoding: [0x00,0x7e,0x00,0x98]

s_lshl3_add_u32 s0, s0, m0
// GFX13: s_lshl3_add_u32 s0, s0, m0              ; encoding: [0x00,0x7d,0x00,0x98]

s_lshl3_add_u32 s0, s0, null
// GFX13: s_lshl3_add_u32 s0, s0, null            ; encoding: [0x00,0x7c,0x00,0x98]

s_lshl3_add_u32 s0, s0, 0
// GFX13: s_lshl3_add_u32 s0, s0, 0               ; encoding: [0x00,0x80,0x00,0x98]

s_lshl3_add_u32 s0, s0, 0.5
// GFX13: s_lshl3_add_u32 s0, s0, 0.5             ; encoding: [0x00,0xf0,0x00,0x98]

s_lshl3_add_u32 s0, s0, 0x12345678
// GFX13: s_lshl3_add_u32 s0, s0, 0x12345678      ; encoding: [0x00,0xff,0x00,0x98,0x78,0x56,0x34,0x12]

s_lshl4_add_u32 s0, s0, s0
// GFX13: s_lshl4_add_u32 s0, s0, s0              ; encoding: [0x00,0x00,0x80,0x98]

s_lshl4_add_u32 s105, s0, s0
// GFX13: s_lshl4_add_u32 s105, s0, s0            ; encoding: [0x00,0x00,0xe9,0x98]

s_lshl4_add_u32 vcc_lo, s0, s0
// GFX13: s_lshl4_add_u32 vcc_lo, s0, s0          ; encoding: [0x00,0x00,0xea,0x98]

s_lshl4_add_u32 exec_lo, s0, s0
// GFX13: s_lshl4_add_u32 exec_lo, s0, s0         ; encoding: [0x00,0x00,0xfe,0x98]

s_lshl4_add_u32 m0, s0, s0
// GFX13: s_lshl4_add_u32 m0, s0, s0              ; encoding: [0x00,0x00,0xfd,0x98]

s_lshl4_add_u32 null, s0, s0
// GFX13: s_lshl4_add_u32 null, s0, s0            ; encoding: [0x00,0x00,0xfc,0x98]

s_lshl4_add_u32 s0, s105, s0
// GFX13: s_lshl4_add_u32 s0, s105, s0            ; encoding: [0x69,0x00,0x80,0x98]

s_lshl4_add_u32 s0, vcc_lo, s0
// GFX13: s_lshl4_add_u32 s0, vcc_lo, s0          ; encoding: [0x6a,0x00,0x80,0x98]

s_lshl4_add_u32 s0, exec_lo, s0
// GFX13: s_lshl4_add_u32 s0, exec_lo, s0         ; encoding: [0x7e,0x00,0x80,0x98]

s_lshl4_add_u32 s0, m0, s0
// GFX13: s_lshl4_add_u32 s0, m0, s0              ; encoding: [0x7d,0x00,0x80,0x98]

s_lshl4_add_u32 s0, null, s0
// GFX13: s_lshl4_add_u32 s0, null, s0            ; encoding: [0x7c,0x00,0x80,0x98]

s_lshl4_add_u32 s0, 0, s0
// GFX13: s_lshl4_add_u32 s0, 0, s0               ; encoding: [0x80,0x00,0x80,0x98]

s_lshl4_add_u32 s0, 0.5, s0
// GFX13: s_lshl4_add_u32 s0, 0.5, s0             ; encoding: [0xf0,0x00,0x80,0x98]

s_lshl4_add_u32 s0, 0x12345678, s0
// GFX13: s_lshl4_add_u32 s0, 0x12345678, s0      ; encoding: [0xff,0x00,0x80,0x98,0x78,0x56,0x34,0x12]

s_lshl4_add_u32 s0, s0, s105
// GFX13: s_lshl4_add_u32 s0, s0, s105            ; encoding: [0x00,0x69,0x80,0x98]

s_lshl4_add_u32 s0, s0, vcc_lo
// GFX13: s_lshl4_add_u32 s0, s0, vcc_lo          ; encoding: [0x00,0x6a,0x80,0x98]

s_lshl4_add_u32 s0, s0, exec_lo
// GFX13: s_lshl4_add_u32 s0, s0, exec_lo         ; encoding: [0x00,0x7e,0x80,0x98]

s_lshl4_add_u32 s0, s0, m0
// GFX13: s_lshl4_add_u32 s0, s0, m0              ; encoding: [0x00,0x7d,0x80,0x98]

s_lshl4_add_u32 s0, s0, null
// GFX13: s_lshl4_add_u32 s0, s0, null            ; encoding: [0x00,0x7c,0x80,0x98]

s_lshl4_add_u32 s0, s0, 0
// GFX13: s_lshl4_add_u32 s0, s0, 0               ; encoding: [0x00,0x80,0x80,0x98]

s_lshl4_add_u32 s0, s0, 0.5
// GFX13: s_lshl4_add_u32 s0, s0, 0.5             ; encoding: [0x00,0xf0,0x80,0x98]

s_lshl4_add_u32 s0, s0, 0x12345678
// GFX13: s_lshl4_add_u32 s0, s0, 0x12345678      ; encoding: [0x00,0xff,0x80,0x98,0x78,0x56,0x34,0x12]

s_pack_ll_b32_b16 s0, s0, s0
// GFX13: s_pack_ll_b32_b16 s0, s0, s0            ; encoding: [0x00,0x00,0x00,0x99]

s_pack_ll_b32_b16 s105, s0, s0
// GFX13: s_pack_ll_b32_b16 s105, s0, s0          ; encoding: [0x00,0x00,0x69,0x99]

s_pack_ll_b32_b16 vcc_lo, s0, s0
// GFX13: s_pack_ll_b32_b16 vcc_lo, s0, s0        ; encoding: [0x00,0x00,0x6a,0x99]

s_pack_ll_b32_b16 exec_lo, s0, s0
// GFX13: s_pack_ll_b32_b16 exec_lo, s0, s0       ; encoding: [0x00,0x00,0x7e,0x99]

s_pack_ll_b32_b16 m0, s0, s0
// GFX13: s_pack_ll_b32_b16 m0, s0, s0            ; encoding: [0x00,0x00,0x7d,0x99]

s_pack_ll_b32_b16 null, s0, s0
// GFX13: s_pack_ll_b32_b16 null, s0, s0          ; encoding: [0x00,0x00,0x7c,0x99]

s_pack_ll_b32_b16 s0, s105, s0
// GFX13: s_pack_ll_b32_b16 s0, s105, s0          ; encoding: [0x69,0x00,0x00,0x99]

s_pack_ll_b32_b16 s0, vcc_lo, s0
// GFX13: s_pack_ll_b32_b16 s0, vcc_lo, s0        ; encoding: [0x6a,0x00,0x00,0x99]

s_pack_ll_b32_b16 s0, exec_lo, s0
// GFX13: s_pack_ll_b32_b16 s0, exec_lo, s0       ; encoding: [0x7e,0x00,0x00,0x99]

s_pack_ll_b32_b16 s0, m0, s0
// GFX13: s_pack_ll_b32_b16 s0, m0, s0            ; encoding: [0x7d,0x00,0x00,0x99]

s_pack_ll_b32_b16 s0, null, s0
// GFX13: s_pack_ll_b32_b16 s0, null, s0          ; encoding: [0x7c,0x00,0x00,0x99]

s_pack_ll_b32_b16 s0, 0, s0
// GFX13: s_pack_ll_b32_b16 s0, 0, s0             ; encoding: [0x80,0x00,0x00,0x99]

s_pack_ll_b32_b16 s0, 0.5, s0
// GFX13: s_pack_ll_b32_b16 s0, 0.5, s0           ; encoding: [0xf0,0x00,0x00,0x99]

s_pack_ll_b32_b16 s0, 0x1234, s0
// GFX13: s_pack_ll_b32_b16 s0, 0x1234, s0        ; encoding: [0xff,0x00,0x00,0x99,0x34,0x12,0x00,0x00]

s_pack_ll_b32_b16 s0, s0, s105
// GFX13: s_pack_ll_b32_b16 s0, s0, s105          ; encoding: [0x00,0x69,0x00,0x99]

s_pack_ll_b32_b16 s0, s0, vcc_lo
// GFX13: s_pack_ll_b32_b16 s0, s0, vcc_lo        ; encoding: [0x00,0x6a,0x00,0x99]

s_pack_ll_b32_b16 s0, s0, exec_lo
// GFX13: s_pack_ll_b32_b16 s0, s0, exec_lo       ; encoding: [0x00,0x7e,0x00,0x99]

s_pack_ll_b32_b16 s0, s0, m0
// GFX13: s_pack_ll_b32_b16 s0, s0, m0            ; encoding: [0x00,0x7d,0x00,0x99]

s_pack_ll_b32_b16 s0, s0, null
// GFX13: s_pack_ll_b32_b16 s0, s0, null          ; encoding: [0x00,0x7c,0x00,0x99]

s_pack_ll_b32_b16 s0, s0, 0
// GFX13: s_pack_ll_b32_b16 s0, s0, 0             ; encoding: [0x00,0x80,0x00,0x99]

s_pack_ll_b32_b16 s0, s0, 0.5
// GFX13: s_pack_ll_b32_b16 s0, s0, 0.5           ; encoding: [0x00,0xf0,0x00,0x99]

s_pack_ll_b32_b16 s0, s0, 0x1234
// GFX13: s_pack_ll_b32_b16 s0, s0, 0x1234        ; encoding: [0x00,0xff,0x00,0x99,0x34,0x12,0x00,0x00]

s_pack_lh_b32_b16 s0, s0, s0
// GFX13: s_pack_lh_b32_b16 s0, s0, s0            ; encoding: [0x00,0x00,0x80,0x99]

s_pack_lh_b32_b16 s105, s0, s0
// GFX13: s_pack_lh_b32_b16 s105, s0, s0          ; encoding: [0x00,0x00,0xe9,0x99]

s_pack_lh_b32_b16 vcc_lo, s0, s0
// GFX13: s_pack_lh_b32_b16 vcc_lo, s0, s0        ; encoding: [0x00,0x00,0xea,0x99]

s_pack_lh_b32_b16 exec_lo, s0, s0
// GFX13: s_pack_lh_b32_b16 exec_lo, s0, s0       ; encoding: [0x00,0x00,0xfe,0x99]

s_pack_lh_b32_b16 m0, s0, s0
// GFX13: s_pack_lh_b32_b16 m0, s0, s0            ; encoding: [0x00,0x00,0xfd,0x99]

s_pack_lh_b32_b16 null, s0, s0
// GFX13: s_pack_lh_b32_b16 null, s0, s0          ; encoding: [0x00,0x00,0xfc,0x99]

s_pack_lh_b32_b16 s0, s105, s0
// GFX13: s_pack_lh_b32_b16 s0, s105, s0          ; encoding: [0x69,0x00,0x80,0x99]

s_pack_lh_b32_b16 s0, vcc_lo, s0
// GFX13: s_pack_lh_b32_b16 s0, vcc_lo, s0        ; encoding: [0x6a,0x00,0x80,0x99]

s_pack_lh_b32_b16 s0, exec_lo, s0
// GFX13: s_pack_lh_b32_b16 s0, exec_lo, s0       ; encoding: [0x7e,0x00,0x80,0x99]

s_pack_lh_b32_b16 s0, m0, s0
// GFX13: s_pack_lh_b32_b16 s0, m0, s0            ; encoding: [0x7d,0x00,0x80,0x99]

s_pack_lh_b32_b16 s0, null, s0
// GFX13: s_pack_lh_b32_b16 s0, null, s0          ; encoding: [0x7c,0x00,0x80,0x99]

s_pack_lh_b32_b16 s0, 0, s0
// GFX13: s_pack_lh_b32_b16 s0, 0, s0             ; encoding: [0x80,0x00,0x80,0x99]

s_pack_lh_b32_b16 s0, 0.5, s0
// GFX13: s_pack_lh_b32_b16 s0, 0.5, s0           ; encoding: [0xf0,0x00,0x80,0x99]

s_pack_lh_b32_b16 s0, 0x1234, s0
// GFX13: s_pack_lh_b32_b16 s0, 0x1234, s0        ; encoding: [0xff,0x00,0x80,0x99,0x34,0x12,0x00,0x00]

s_pack_lh_b32_b16 s0, s0, s105
// GFX13: s_pack_lh_b32_b16 s0, s0, s105          ; encoding: [0x00,0x69,0x80,0x99]

s_pack_lh_b32_b16 s0, s0, vcc_lo
// GFX13: s_pack_lh_b32_b16 s0, s0, vcc_lo        ; encoding: [0x00,0x6a,0x80,0x99]

s_pack_lh_b32_b16 s0, s0, exec_lo
// GFX13: s_pack_lh_b32_b16 s0, s0, exec_lo       ; encoding: [0x00,0x7e,0x80,0x99]

s_pack_lh_b32_b16 s0, s0, m0
// GFX13: s_pack_lh_b32_b16 s0, s0, m0            ; encoding: [0x00,0x7d,0x80,0x99]

s_pack_lh_b32_b16 s0, s0, null
// GFX13: s_pack_lh_b32_b16 s0, s0, null          ; encoding: [0x00,0x7c,0x80,0x99]

s_pack_lh_b32_b16 s0, s0, 0
// GFX13: s_pack_lh_b32_b16 s0, s0, 0             ; encoding: [0x00,0x80,0x80,0x99]

s_pack_lh_b32_b16 s0, s0, 0.5
// GFX13: s_pack_lh_b32_b16 s0, s0, 0.5           ; encoding: [0x00,0xf0,0x80,0x99]

s_pack_lh_b32_b16 s0, s0, 0x1234
// GFX13: s_pack_lh_b32_b16 s0, s0, 0x1234        ; encoding: [0x00,0xff,0x80,0x99,0x34,0x12,0x00,0x00]

s_pack_hh_b32_b16 s0, s0, s0
// GFX13: s_pack_hh_b32_b16 s0, s0, s0            ; encoding: [0x00,0x00,0x00,0x9a]

s_pack_hh_b32_b16 s105, s0, s0
// GFX13: s_pack_hh_b32_b16 s105, s0, s0          ; encoding: [0x00,0x00,0x69,0x9a]

s_pack_hh_b32_b16 vcc_lo, s0, s0
// GFX13: s_pack_hh_b32_b16 vcc_lo, s0, s0        ; encoding: [0x00,0x00,0x6a,0x9a]

s_pack_hh_b32_b16 exec_lo, s0, s0
// GFX13: s_pack_hh_b32_b16 exec_lo, s0, s0       ; encoding: [0x00,0x00,0x7e,0x9a]

s_pack_hh_b32_b16 m0, s0, s0
// GFX13: s_pack_hh_b32_b16 m0, s0, s0            ; encoding: [0x00,0x00,0x7d,0x9a]

s_pack_hh_b32_b16 null, s0, s0
// GFX13: s_pack_hh_b32_b16 null, s0, s0          ; encoding: [0x00,0x00,0x7c,0x9a]

s_pack_hh_b32_b16 s0, s105, s0
// GFX13: s_pack_hh_b32_b16 s0, s105, s0          ; encoding: [0x69,0x00,0x00,0x9a]

s_pack_hh_b32_b16 s0, vcc_lo, s0
// GFX13: s_pack_hh_b32_b16 s0, vcc_lo, s0        ; encoding: [0x6a,0x00,0x00,0x9a]

s_pack_hh_b32_b16 s0, exec_lo, s0
// GFX13: s_pack_hh_b32_b16 s0, exec_lo, s0       ; encoding: [0x7e,0x00,0x00,0x9a]

s_pack_hh_b32_b16 s0, m0, s0
// GFX13: s_pack_hh_b32_b16 s0, m0, s0            ; encoding: [0x7d,0x00,0x00,0x9a]

s_pack_hh_b32_b16 s0, null, s0
// GFX13: s_pack_hh_b32_b16 s0, null, s0          ; encoding: [0x7c,0x00,0x00,0x9a]

s_pack_hh_b32_b16 s0, 0, s0
// GFX13: s_pack_hh_b32_b16 s0, 0, s0             ; encoding: [0x80,0x00,0x00,0x9a]

s_pack_hh_b32_b16 s0, 0.5, s0
// GFX13: s_pack_hh_b32_b16 s0, 0.5, s0           ; encoding: [0xf0,0x00,0x00,0x9a]

s_pack_hh_b32_b16 s0, 0x1234, s0
// GFX13: s_pack_hh_b32_b16 s0, 0x1234, s0        ; encoding: [0xff,0x00,0x00,0x9a,0x34,0x12,0x00,0x00]

s_pack_hh_b32_b16 s0, s0, s105
// GFX13: s_pack_hh_b32_b16 s0, s0, s105          ; encoding: [0x00,0x69,0x00,0x9a]

s_pack_hh_b32_b16 s0, s0, vcc_lo
// GFX13: s_pack_hh_b32_b16 s0, s0, vcc_lo        ; encoding: [0x00,0x6a,0x00,0x9a]

s_pack_hh_b32_b16 s0, s0, exec_lo
// GFX13: s_pack_hh_b32_b16 s0, s0, exec_lo       ; encoding: [0x00,0x7e,0x00,0x9a]

s_pack_hh_b32_b16 s0, s0, m0
// GFX13: s_pack_hh_b32_b16 s0, s0, m0            ; encoding: [0x00,0x7d,0x00,0x9a]

s_pack_hh_b32_b16 s0, s0, null
// GFX13: s_pack_hh_b32_b16 s0, s0, null          ; encoding: [0x00,0x7c,0x00,0x9a]

s_pack_hh_b32_b16 s0, s0, 0
// GFX13: s_pack_hh_b32_b16 s0, s0, 0             ; encoding: [0x00,0x80,0x00,0x9a]

s_pack_hh_b32_b16 s0, s0, 0.5
// GFX13: s_pack_hh_b32_b16 s0, s0, 0.5           ; encoding: [0x00,0xf0,0x00,0x9a]

s_pack_hh_b32_b16 s0, s0, 0x1234
// GFX13: s_pack_hh_b32_b16 s0, s0, 0x1234        ; encoding: [0x00,0xff,0x00,0x9a,0x34,0x12,0x00,0x00]

s_mul_hi_u32 s0, s0, s0
// GFX13: s_mul_hi_u32 s0, s0, s0                 ; encoding: [0x00,0x00,0x80,0x9a]

s_mul_hi_u32 s105, s0, s0
// GFX13: s_mul_hi_u32 s105, s0, s0               ; encoding: [0x00,0x00,0xe9,0x9a]

s_mul_hi_u32 vcc_lo, s0, s0
// GFX13: s_mul_hi_u32 vcc_lo, s0, s0             ; encoding: [0x00,0x00,0xea,0x9a]

s_mul_hi_u32 exec_lo, s0, s0
// GFX13: s_mul_hi_u32 exec_lo, s0, s0            ; encoding: [0x00,0x00,0xfe,0x9a]

s_mul_hi_u32 m0, s0, s0
// GFX13: s_mul_hi_u32 m0, s0, s0                 ; encoding: [0x00,0x00,0xfd,0x9a]

s_mul_hi_u32 null, s0, s0
// GFX13: s_mul_hi_u32 null, s0, s0               ; encoding: [0x00,0x00,0xfc,0x9a]

s_mul_hi_u32 s0, s105, s0
// GFX13: s_mul_hi_u32 s0, s105, s0               ; encoding: [0x69,0x00,0x80,0x9a]

s_mul_hi_u32 s0, vcc_lo, s0
// GFX13: s_mul_hi_u32 s0, vcc_lo, s0             ; encoding: [0x6a,0x00,0x80,0x9a]

s_mul_hi_u32 s0, exec_lo, s0
// GFX13: s_mul_hi_u32 s0, exec_lo, s0            ; encoding: [0x7e,0x00,0x80,0x9a]

s_mul_hi_u32 s0, m0, s0
// GFX13: s_mul_hi_u32 s0, m0, s0                 ; encoding: [0x7d,0x00,0x80,0x9a]

s_mul_hi_u32 s0, null, s0
// GFX13: s_mul_hi_u32 s0, null, s0               ; encoding: [0x7c,0x00,0x80,0x9a]

s_mul_hi_u32 s0, 0, s0
// GFX13: s_mul_hi_u32 s0, 0, s0                  ; encoding: [0x80,0x00,0x80,0x9a]

s_mul_hi_u32 s0, 0.5, s0
// GFX13: s_mul_hi_u32 s0, 0.5, s0                ; encoding: [0xf0,0x00,0x80,0x9a]

s_mul_hi_u32 s0, 0x12345678, s0
// GFX13: s_mul_hi_u32 s0, 0x12345678, s0         ; encoding: [0xff,0x00,0x80,0x9a,0x78,0x56,0x34,0x12]

s_mul_hi_u32 s0, s0, s105
// GFX13: s_mul_hi_u32 s0, s0, s105               ; encoding: [0x00,0x69,0x80,0x9a]

s_mul_hi_u32 s0, s0, vcc_lo
// GFX13: s_mul_hi_u32 s0, s0, vcc_lo             ; encoding: [0x00,0x6a,0x80,0x9a]

s_mul_hi_u32 s0, s0, exec_lo
// GFX13: s_mul_hi_u32 s0, s0, exec_lo            ; encoding: [0x00,0x7e,0x80,0x9a]

s_mul_hi_u32 s0, s0, m0
// GFX13: s_mul_hi_u32 s0, s0, m0                 ; encoding: [0x00,0x7d,0x80,0x9a]

s_mul_hi_u32 s0, s0, null
// GFX13: s_mul_hi_u32 s0, s0, null               ; encoding: [0x00,0x7c,0x80,0x9a]

s_mul_hi_u32 s0, s0, 0
// GFX13: s_mul_hi_u32 s0, s0, 0                  ; encoding: [0x00,0x80,0x80,0x9a]

s_mul_hi_u32 s0, s0, 0.5
// GFX13: s_mul_hi_u32 s0, s0, 0.5                ; encoding: [0x00,0xf0,0x80,0x9a]

s_mul_hi_u32 s0, s0, 0x12345678
// GFX13: s_mul_hi_u32 s0, s0, 0x12345678         ; encoding: [0x00,0xff,0x80,0x9a,0x78,0x56,0x34,0x12]

s_mul_hi_i32 s0, s0, s0
// GFX13: s_mul_hi_i32 s0, s0, s0                 ; encoding: [0x00,0x00,0x00,0x9b]

s_mul_hi_i32 s105, s0, s0
// GFX13: s_mul_hi_i32 s105, s0, s0               ; encoding: [0x00,0x00,0x69,0x9b]

s_mul_hi_i32 vcc_lo, s0, s0
// GFX13: s_mul_hi_i32 vcc_lo, s0, s0             ; encoding: [0x00,0x00,0x6a,0x9b]

s_mul_hi_i32 exec_lo, s0, s0
// GFX13: s_mul_hi_i32 exec_lo, s0, s0            ; encoding: [0x00,0x00,0x7e,0x9b]

s_mul_hi_i32 m0, s0, s0
// GFX13: s_mul_hi_i32 m0, s0, s0                 ; encoding: [0x00,0x00,0x7d,0x9b]

s_mul_hi_i32 null, s0, s0
// GFX13: s_mul_hi_i32 null, s0, s0               ; encoding: [0x00,0x00,0x7c,0x9b]

s_mul_hi_i32 s0, s105, s0
// GFX13: s_mul_hi_i32 s0, s105, s0               ; encoding: [0x69,0x00,0x00,0x9b]

s_mul_hi_i32 s0, vcc_lo, s0
// GFX13: s_mul_hi_i32 s0, vcc_lo, s0             ; encoding: [0x6a,0x00,0x00,0x9b]

s_mul_hi_i32 s0, exec_lo, s0
// GFX13: s_mul_hi_i32 s0, exec_lo, s0            ; encoding: [0x7e,0x00,0x00,0x9b]

s_mul_hi_i32 s0, m0, s0
// GFX13: s_mul_hi_i32 s0, m0, s0                 ; encoding: [0x7d,0x00,0x00,0x9b]

s_mul_hi_i32 s0, null, s0
// GFX13: s_mul_hi_i32 s0, null, s0               ; encoding: [0x7c,0x00,0x00,0x9b]

s_mul_hi_i32 s0, 0, s0
// GFX13: s_mul_hi_i32 s0, 0, s0                  ; encoding: [0x80,0x00,0x00,0x9b]

s_mul_hi_i32 s0, 0.5, s0
// GFX13: s_mul_hi_i32 s0, 0.5, s0                ; encoding: [0xf0,0x00,0x00,0x9b]

s_mul_hi_i32 s0, 0x12345678, s0
// GFX13: s_mul_hi_i32 s0, 0x12345678, s0         ; encoding: [0xff,0x00,0x00,0x9b,0x78,0x56,0x34,0x12]

s_mul_hi_i32 s0, s0, s105
// GFX13: s_mul_hi_i32 s0, s0, s105               ; encoding: [0x00,0x69,0x00,0x9b]

s_mul_hi_i32 s0, s0, vcc_lo
// GFX13: s_mul_hi_i32 s0, s0, vcc_lo             ; encoding: [0x00,0x6a,0x00,0x9b]

s_mul_hi_i32 s0, s0, exec_lo
// GFX13: s_mul_hi_i32 s0, s0, exec_lo            ; encoding: [0x00,0x7e,0x00,0x9b]

s_mul_hi_i32 s0, s0, m0
// GFX13: s_mul_hi_i32 s0, s0, m0                 ; encoding: [0x00,0x7d,0x00,0x9b]

s_mul_hi_i32 s0, s0, null
// GFX13: s_mul_hi_i32 s0, s0, null               ; encoding: [0x00,0x7c,0x00,0x9b]

s_mul_hi_i32 s0, s0, 0
// GFX13: s_mul_hi_i32 s0, s0, 0                  ; encoding: [0x00,0x80,0x00,0x9b]

s_mul_hi_i32 s0, s0, 0.5
// GFX13: s_mul_hi_i32 s0, s0, 0.5                ; encoding: [0x00,0xf0,0x00,0x9b]

s_mul_hi_i32 s0, s0, 0x12345678
// GFX13: s_mul_hi_i32 s0, s0, 0x12345678         ; encoding: [0x00,0xff,0x00,0x9b,0x78,0x56,0x34,0x12]

s_pack_hl_b32_b16 s0, s0, s0
// GFX13: s_pack_hl_b32_b16 s0, s0, s0            ; encoding: [0x00,0x00,0x80,0x9b]

s_pack_hl_b32_b16 s105, s0, s0
// GFX13: s_pack_hl_b32_b16 s105, s0, s0          ; encoding: [0x00,0x00,0xe9,0x9b]

s_pack_hl_b32_b16 vcc_lo, s0, s0
// GFX13: s_pack_hl_b32_b16 vcc_lo, s0, s0        ; encoding: [0x00,0x00,0xea,0x9b]

s_pack_hl_b32_b16 exec_lo, s0, s0
// GFX13: s_pack_hl_b32_b16 exec_lo, s0, s0       ; encoding: [0x00,0x00,0xfe,0x9b]

s_pack_hl_b32_b16 m0, s0, s0
// GFX13: s_pack_hl_b32_b16 m0, s0, s0            ; encoding: [0x00,0x00,0xfd,0x9b]

s_pack_hl_b32_b16 null, s0, s0
// GFX13: s_pack_hl_b32_b16 null, s0, s0          ; encoding: [0x00,0x00,0xfc,0x9b]

s_pack_hl_b32_b16 s0, s105, s0
// GFX13: s_pack_hl_b32_b16 s0, s105, s0          ; encoding: [0x69,0x00,0x80,0x9b]

s_pack_hl_b32_b16 s0, vcc_lo, s0
// GFX13: s_pack_hl_b32_b16 s0, vcc_lo, s0        ; encoding: [0x6a,0x00,0x80,0x9b]

s_pack_hl_b32_b16 s0, exec_lo, s0
// GFX13: s_pack_hl_b32_b16 s0, exec_lo, s0       ; encoding: [0x7e,0x00,0x80,0x9b]

s_pack_hl_b32_b16 s0, m0, s0
// GFX13: s_pack_hl_b32_b16 s0, m0, s0            ; encoding: [0x7d,0x00,0x80,0x9b]

s_pack_hl_b32_b16 s0, null, s0
// GFX13: s_pack_hl_b32_b16 s0, null, s0          ; encoding: [0x7c,0x00,0x80,0x9b]

s_pack_hl_b32_b16 s0, 0, s0
// GFX13: s_pack_hl_b32_b16 s0, 0, s0             ; encoding: [0x80,0x00,0x80,0x9b]

s_pack_hl_b32_b16 s0, 0.5, s0
// GFX13: s_pack_hl_b32_b16 s0, 0.5, s0           ; encoding: [0xf0,0x00,0x80,0x9b]

s_pack_hl_b32_b16 s0, 0x1234, s0
// GFX13: s_pack_hl_b32_b16 s0, 0x1234, s0        ; encoding: [0xff,0x00,0x80,0x9b,0x34,0x12,0x00,0x00]

s_pack_hl_b32_b16 s0, s0, s105
// GFX13: s_pack_hl_b32_b16 s0, s0, s105          ; encoding: [0x00,0x69,0x80,0x9b]

s_pack_hl_b32_b16 s0, s0, vcc_lo
// GFX13: s_pack_hl_b32_b16 s0, s0, vcc_lo        ; encoding: [0x00,0x6a,0x80,0x9b]

s_pack_hl_b32_b16 s0, s0, exec_lo
// GFX13: s_pack_hl_b32_b16 s0, s0, exec_lo       ; encoding: [0x00,0x7e,0x80,0x9b]

s_pack_hl_b32_b16 s0, s0, m0
// GFX13: s_pack_hl_b32_b16 s0, s0, m0            ; encoding: [0x00,0x7d,0x80,0x9b]

s_pack_hl_b32_b16 s0, s0, null
// GFX13: s_pack_hl_b32_b16 s0, s0, null          ; encoding: [0x00,0x7c,0x80,0x9b]

s_pack_hl_b32_b16 s0, s0, 0
// GFX13: s_pack_hl_b32_b16 s0, s0, 0             ; encoding: [0x00,0x80,0x80,0x9b]

s_pack_hl_b32_b16 s0, s0, 0.5
// GFX13: s_pack_hl_b32_b16 s0, s0, 0.5           ; encoding: [0x00,0xf0,0x80,0x9b]

s_pack_hl_b32_b16 s0, s0, 0x1234
// GFX13: s_pack_hl_b32_b16 s0, s0, 0x1234        ; encoding: [0x00,0xff,0x80,0x9b,0x34,0x12,0x00,0x00]

s_add_f32 s0, s0, s0
// GFX13: s_add_f32 s0, s0, s0                    ; encoding: [0x00,0x00,0x00,0xa0]

s_add_f32 s105, s0, s0
// GFX13: s_add_f32 s105, s0, s0                  ; encoding: [0x00,0x00,0x69,0xa0]

s_add_f32 vcc_lo, s0, s0
// GFX13: s_add_f32 vcc_lo, s0, s0                ; encoding: [0x00,0x00,0x6a,0xa0]

s_add_f32 exec_lo, s0, s0
// GFX13: s_add_f32 exec_lo, s0, s0               ; encoding: [0x00,0x00,0x7e,0xa0]

s_add_f32 m0, s0, s0
// GFX13: s_add_f32 m0, s0, s0                    ; encoding: [0x00,0x00,0x7d,0xa0]

s_add_f32 null, s0, s0
// GFX13: s_add_f32 null, s0, s0                  ; encoding: [0x00,0x00,0x7c,0xa0]

s_add_f32 s0, s105, s0
// GFX13: s_add_f32 s0, s105, s0                  ; encoding: [0x69,0x00,0x00,0xa0]

s_add_f32 s0, vcc_lo, s0
// GFX13: s_add_f32 s0, vcc_lo, s0                ; encoding: [0x6a,0x00,0x00,0xa0]

s_add_f32 s0, exec_lo, s0
// GFX13: s_add_f32 s0, exec_lo, s0               ; encoding: [0x7e,0x00,0x00,0xa0]

s_add_f32 s0, m0, s0
// GFX13: s_add_f32 s0, m0, s0                    ; encoding: [0x7d,0x00,0x00,0xa0]

s_add_f32 s0, null, s0
// GFX13: s_add_f32 s0, null, s0                  ; encoding: [0x7c,0x00,0x00,0xa0]

s_add_f32 s0, 0, s0
// GFX13: s_add_f32 s0, 0, s0                     ; encoding: [0x80,0x00,0x00,0xa0]

s_add_f32 s0, 0.5, s0
// GFX13: s_add_f32 s0, 0.5, s0                   ; encoding: [0xf0,0x00,0x00,0xa0]

s_add_f32 s0, 0x12345678, s0
// GFX13: s_add_f32 s0, 0x12345678, s0            ; encoding: [0xff,0x00,0x00,0xa0,0x78,0x56,0x34,0x12]

s_add_f32 s0, s0, s105
// GFX13: s_add_f32 s0, s0, s105                  ; encoding: [0x00,0x69,0x00,0xa0]

s_add_f32 s0, s0, vcc_lo
// GFX13: s_add_f32 s0, s0, vcc_lo                ; encoding: [0x00,0x6a,0x00,0xa0]

s_add_f32 s0, s0, exec_lo
// GFX13: s_add_f32 s0, s0, exec_lo               ; encoding: [0x00,0x7e,0x00,0xa0]

s_add_f32 s0, s0, m0
// GFX13: s_add_f32 s0, s0, m0                    ; encoding: [0x00,0x7d,0x00,0xa0]

s_add_f32 s0, s0, null
// GFX13: s_add_f32 s0, s0, null                  ; encoding: [0x00,0x7c,0x00,0xa0]

s_add_f32 s0, s0, 0
// GFX13: s_add_f32 s0, s0, 0                     ; encoding: [0x00,0x80,0x00,0xa0]

s_add_f32 s0, s0, 0.5
// GFX13: s_add_f32 s0, s0, 0.5                   ; encoding: [0x00,0xf0,0x00,0xa0]

s_add_f32 s0, s0, 0x12345678
// GFX13: s_add_f32 s0, s0, 0x12345678            ; encoding: [0x00,0xff,0x00,0xa0,0x78,0x56,0x34,0x12]

s_sub_f32 s0, s0, s0
// GFX13: s_sub_f32 s0, s0, s0                    ; encoding: [0x00,0x00,0x80,0xa0]

s_sub_f32 s105, s0, s0
// GFX13: s_sub_f32 s105, s0, s0                  ; encoding: [0x00,0x00,0xe9,0xa0]

s_sub_f32 vcc_lo, s0, s0
// GFX13: s_sub_f32 vcc_lo, s0, s0                ; encoding: [0x00,0x00,0xea,0xa0]

s_sub_f32 exec_lo, s0, s0
// GFX13: s_sub_f32 exec_lo, s0, s0               ; encoding: [0x00,0x00,0xfe,0xa0]

s_sub_f32 m0, s0, s0
// GFX13: s_sub_f32 m0, s0, s0                    ; encoding: [0x00,0x00,0xfd,0xa0]

s_sub_f32 null, s0, s0
// GFX13: s_sub_f32 null, s0, s0                  ; encoding: [0x00,0x00,0xfc,0xa0]

s_sub_f32 s0, s105, s0
// GFX13: s_sub_f32 s0, s105, s0                  ; encoding: [0x69,0x00,0x80,0xa0]

s_sub_f32 s0, vcc_lo, s0
// GFX13: s_sub_f32 s0, vcc_lo, s0                ; encoding: [0x6a,0x00,0x80,0xa0]

s_sub_f32 s0, exec_lo, s0
// GFX13: s_sub_f32 s0, exec_lo, s0               ; encoding: [0x7e,0x00,0x80,0xa0]

s_sub_f32 s0, m0, s0
// GFX13: s_sub_f32 s0, m0, s0                    ; encoding: [0x7d,0x00,0x80,0xa0]

s_sub_f32 s0, null, s0
// GFX13: s_sub_f32 s0, null, s0                  ; encoding: [0x7c,0x00,0x80,0xa0]

s_sub_f32 s0, 0, s0
// GFX13: s_sub_f32 s0, 0, s0                     ; encoding: [0x80,0x00,0x80,0xa0]

s_sub_f32 s0, 0.5, s0
// GFX13: s_sub_f32 s0, 0.5, s0                   ; encoding: [0xf0,0x00,0x80,0xa0]

s_sub_f32 s0, 0x12345678, s0
// GFX13: s_sub_f32 s0, 0x12345678, s0            ; encoding: [0xff,0x00,0x80,0xa0,0x78,0x56,0x34,0x12]

s_sub_f32 s0, s0, s105
// GFX13: s_sub_f32 s0, s0, s105                  ; encoding: [0x00,0x69,0x80,0xa0]

s_sub_f32 s0, s0, vcc_lo
// GFX13: s_sub_f32 s0, s0, vcc_lo                ; encoding: [0x00,0x6a,0x80,0xa0]

s_sub_f32 s0, s0, exec_lo
// GFX13: s_sub_f32 s0, s0, exec_lo               ; encoding: [0x00,0x7e,0x80,0xa0]

s_sub_f32 s0, s0, m0
// GFX13: s_sub_f32 s0, s0, m0                    ; encoding: [0x00,0x7d,0x80,0xa0]

s_sub_f32 s0, s0, null
// GFX13: s_sub_f32 s0, s0, null                  ; encoding: [0x00,0x7c,0x80,0xa0]

s_sub_f32 s0, s0, 0
// GFX13: s_sub_f32 s0, s0, 0                     ; encoding: [0x00,0x80,0x80,0xa0]

s_sub_f32 s0, s0, 0.5
// GFX13: s_sub_f32 s0, s0, 0.5                   ; encoding: [0x00,0xf0,0x80,0xa0]

s_sub_f32 s0, s0, 0x12345678
// GFX13: s_sub_f32 s0, s0, 0x12345678            ; encoding: [0x00,0xff,0x80,0xa0,0x78,0x56,0x34,0x12]

s_min_num_f32 s0, s0, s0
// GFX13: s_min_num_f32 s0, s0, s0                ; encoding: [0x00,0x00,0x00,0xa1]

s_min_num_f32 s105, s0, s0
// GFX13: s_min_num_f32 s105, s0, s0              ; encoding: [0x00,0x00,0x69,0xa1]

s_min_num_f32 vcc_lo, s0, s0
// GFX13: s_min_num_f32 vcc_lo, s0, s0            ; encoding: [0x00,0x00,0x6a,0xa1]

s_min_num_f32 exec_lo, s0, s0
// GFX13: s_min_num_f32 exec_lo, s0, s0           ; encoding: [0x00,0x00,0x7e,0xa1]

s_min_num_f32 m0, s0, s0
// GFX13: s_min_num_f32 m0, s0, s0                ; encoding: [0x00,0x00,0x7d,0xa1]

s_min_num_f32 null, s0, s0
// GFX13: s_min_num_f32 null, s0, s0              ; encoding: [0x00,0x00,0x7c,0xa1]

s_min_num_f32 s0, s105, s0
// GFX13: s_min_num_f32 s0, s105, s0              ; encoding: [0x69,0x00,0x00,0xa1]

s_min_num_f32 s0, vcc_lo, s0
// GFX13: s_min_num_f32 s0, vcc_lo, s0            ; encoding: [0x6a,0x00,0x00,0xa1]

s_min_num_f32 s0, exec_lo, s0
// GFX13: s_min_num_f32 s0, exec_lo, s0           ; encoding: [0x7e,0x00,0x00,0xa1]

s_min_num_f32 s0, m0, s0
// GFX13: s_min_num_f32 s0, m0, s0                ; encoding: [0x7d,0x00,0x00,0xa1]

s_min_num_f32 s0, null, s0
// GFX13: s_min_num_f32 s0, null, s0              ; encoding: [0x7c,0x00,0x00,0xa1]

s_min_num_f32 s0, 0, s0
// GFX13: s_min_num_f32 s0, 0, s0                 ; encoding: [0x80,0x00,0x00,0xa1]

s_min_num_f32 s0, 0.5, s0
// GFX13: s_min_num_f32 s0, 0.5, s0               ; encoding: [0xf0,0x00,0x00,0xa1]

s_min_num_f32 s0, 0x12345678, s0
// GFX13: s_min_num_f32 s0, 0x12345678, s0        ; encoding: [0xff,0x00,0x00,0xa1,0x78,0x56,0x34,0x12]

s_min_num_f32 s0, s0, s105
// GFX13: s_min_num_f32 s0, s0, s105              ; encoding: [0x00,0x69,0x00,0xa1]

s_min_num_f32 s0, s0, vcc_lo
// GFX13: s_min_num_f32 s0, s0, vcc_lo            ; encoding: [0x00,0x6a,0x00,0xa1]

s_min_num_f32 s0, s0, exec_lo
// GFX13: s_min_num_f32 s0, s0, exec_lo           ; encoding: [0x00,0x7e,0x00,0xa1]

s_min_num_f32 s0, s0, m0
// GFX13: s_min_num_f32 s0, s0, m0                ; encoding: [0x00,0x7d,0x00,0xa1]

s_min_num_f32 s0, s0, null
// GFX13: s_min_num_f32 s0, s0, null              ; encoding: [0x00,0x7c,0x00,0xa1]

s_min_num_f32 s0, s0, 0
// GFX13: s_min_num_f32 s0, s0, 0                 ; encoding: [0x00,0x80,0x00,0xa1]

s_min_num_f32 s0, s0, 0.5
// GFX13: s_min_num_f32 s0, s0, 0.5               ; encoding: [0x00,0xf0,0x00,0xa1]

s_min_num_f32 s0, s0, 0x12345678
// GFX13: s_min_num_f32 s0, s0, 0x12345678        ; encoding: [0x00,0xff,0x00,0xa1,0x78,0x56,0x34,0x12]

s_max_num_f32 s0, s0, s0
// GFX13: s_max_num_f32 s0, s0, s0                ; encoding: [0x00,0x00,0x80,0xa1]

s_max_num_f32 s105, s0, s0
// GFX13: s_max_num_f32 s105, s0, s0              ; encoding: [0x00,0x00,0xe9,0xa1]

s_max_num_f32 vcc_lo, s0, s0
// GFX13: s_max_num_f32 vcc_lo, s0, s0            ; encoding: [0x00,0x00,0xea,0xa1]

s_max_num_f32 exec_lo, s0, s0
// GFX13: s_max_num_f32 exec_lo, s0, s0           ; encoding: [0x00,0x00,0xfe,0xa1]

s_max_num_f32 m0, s0, s0
// GFX13: s_max_num_f32 m0, s0, s0                ; encoding: [0x00,0x00,0xfd,0xa1]

s_max_num_f32 null, s0, s0
// GFX13: s_max_num_f32 null, s0, s0              ; encoding: [0x00,0x00,0xfc,0xa1]

s_max_num_f32 s0, s105, s0
// GFX13: s_max_num_f32 s0, s105, s0              ; encoding: [0x69,0x00,0x80,0xa1]

s_max_num_f32 s0, vcc_lo, s0
// GFX13: s_max_num_f32 s0, vcc_lo, s0            ; encoding: [0x6a,0x00,0x80,0xa1]

s_max_num_f32 s0, exec_lo, s0
// GFX13: s_max_num_f32 s0, exec_lo, s0           ; encoding: [0x7e,0x00,0x80,0xa1]

s_max_num_f32 s0, m0, s0
// GFX13: s_max_num_f32 s0, m0, s0                ; encoding: [0x7d,0x00,0x80,0xa1]

s_max_num_f32 s0, null, s0
// GFX13: s_max_num_f32 s0, null, s0              ; encoding: [0x7c,0x00,0x80,0xa1]

s_max_num_f32 s0, 0, s0
// GFX13: s_max_num_f32 s0, 0, s0                 ; encoding: [0x80,0x00,0x80,0xa1]

s_max_num_f32 s0, 0.5, s0
// GFX13: s_max_num_f32 s0, 0.5, s0               ; encoding: [0xf0,0x00,0x80,0xa1]

s_max_num_f32 s0, 0x12345678, s0
// GFX13: s_max_num_f32 s0, 0x12345678, s0        ; encoding: [0xff,0x00,0x80,0xa1,0x78,0x56,0x34,0x12]

s_max_num_f32 s0, s0, s105
// GFX13: s_max_num_f32 s0, s0, s105              ; encoding: [0x00,0x69,0x80,0xa1]

s_max_num_f32 s0, s0, vcc_lo
// GFX13: s_max_num_f32 s0, s0, vcc_lo            ; encoding: [0x00,0x6a,0x80,0xa1]

s_max_num_f32 s0, s0, exec_lo
// GFX13: s_max_num_f32 s0, s0, exec_lo           ; encoding: [0x00,0x7e,0x80,0xa1]

s_max_num_f32 s0, s0, m0
// GFX13: s_max_num_f32 s0, s0, m0                ; encoding: [0x00,0x7d,0x80,0xa1]

s_max_num_f32 s0, s0, null
// GFX13: s_max_num_f32 s0, s0, null              ; encoding: [0x00,0x7c,0x80,0xa1]

s_max_num_f32 s0, s0, 0
// GFX13: s_max_num_f32 s0, s0, 0                 ; encoding: [0x00,0x80,0x80,0xa1]

s_max_num_f32 s0, s0, 0.5
// GFX13: s_max_num_f32 s0, s0, 0.5               ; encoding: [0x00,0xf0,0x80,0xa1]

s_max_num_f32 s0, s0, 0x12345678
// GFX13: s_max_num_f32 s0, s0, 0x12345678        ; encoding: [0x00,0xff,0x80,0xa1,0x78,0x56,0x34,0x12]

s_mul_f32 s0, s0, s0
// GFX13: s_mul_f32 s0, s0, s0                    ; encoding: [0x00,0x00,0x00,0xa2]

s_mul_f32 s105, s0, s0
// GFX13: s_mul_f32 s105, s0, s0                  ; encoding: [0x00,0x00,0x69,0xa2]

s_mul_f32 vcc_lo, s0, s0
// GFX13: s_mul_f32 vcc_lo, s0, s0                ; encoding: [0x00,0x00,0x6a,0xa2]

s_mul_f32 exec_lo, s0, s0
// GFX13: s_mul_f32 exec_lo, s0, s0               ; encoding: [0x00,0x00,0x7e,0xa2]

s_mul_f32 m0, s0, s0
// GFX13: s_mul_f32 m0, s0, s0                    ; encoding: [0x00,0x00,0x7d,0xa2]

s_mul_f32 null, s0, s0
// GFX13: s_mul_f32 null, s0, s0                  ; encoding: [0x00,0x00,0x7c,0xa2]

s_mul_f32 s0, s105, s0
// GFX13: s_mul_f32 s0, s105, s0                  ; encoding: [0x69,0x00,0x00,0xa2]

s_mul_f32 s0, vcc_lo, s0
// GFX13: s_mul_f32 s0, vcc_lo, s0                ; encoding: [0x6a,0x00,0x00,0xa2]

s_mul_f32 s0, exec_lo, s0
// GFX13: s_mul_f32 s0, exec_lo, s0               ; encoding: [0x7e,0x00,0x00,0xa2]

s_mul_f32 s0, m0, s0
// GFX13: s_mul_f32 s0, m0, s0                    ; encoding: [0x7d,0x00,0x00,0xa2]

s_mul_f32 s0, null, s0
// GFX13: s_mul_f32 s0, null, s0                  ; encoding: [0x7c,0x00,0x00,0xa2]

s_mul_f32 s0, 0, s0
// GFX13: s_mul_f32 s0, 0, s0                     ; encoding: [0x80,0x00,0x00,0xa2]

s_mul_f32 s0, 0.5, s0
// GFX13: s_mul_f32 s0, 0.5, s0                   ; encoding: [0xf0,0x00,0x00,0xa2]

s_mul_f32 s0, 0x12345678, s0
// GFX13: s_mul_f32 s0, 0x12345678, s0            ; encoding: [0xff,0x00,0x00,0xa2,0x78,0x56,0x34,0x12]

s_mul_f32 s0, s0, s105
// GFX13: s_mul_f32 s0, s0, s105                  ; encoding: [0x00,0x69,0x00,0xa2]

s_mul_f32 s0, s0, vcc_lo
// GFX13: s_mul_f32 s0, s0, vcc_lo                ; encoding: [0x00,0x6a,0x00,0xa2]

s_mul_f32 s0, s0, exec_lo
// GFX13: s_mul_f32 s0, s0, exec_lo               ; encoding: [0x00,0x7e,0x00,0xa2]

s_mul_f32 s0, s0, m0
// GFX13: s_mul_f32 s0, s0, m0                    ; encoding: [0x00,0x7d,0x00,0xa2]

s_mul_f32 s0, s0, null
// GFX13: s_mul_f32 s0, s0, null                  ; encoding: [0x00,0x7c,0x00,0xa2]

s_mul_f32 s0, s0, 0
// GFX13: s_mul_f32 s0, s0, 0                     ; encoding: [0x00,0x80,0x00,0xa2]

s_mul_f32 s0, s0, 0.5
// GFX13: s_mul_f32 s0, s0, 0.5                   ; encoding: [0x00,0xf0,0x00,0xa2]

s_mul_f32 s0, s0, 0x12345678
// GFX13: s_mul_f32 s0, s0, 0x12345678            ; encoding: [0x00,0xff,0x00,0xa2,0x78,0x56,0x34,0x12]

s_fmaak_f32 s0, s0, s0, 0
// GFX13: s_fmaak_f32 s0, s0, s0, 0x0             ; encoding: [0x00,0x00,0x80,0xa2,0x00,0x00,0x00,0x00]

s_fmaak_f32 s105, s0, s0, 0
// GFX13: s_fmaak_f32 s105, s0, s0, 0x0           ; encoding: [0x00,0x00,0xe9,0xa2,0x00,0x00,0x00,0x00]

s_fmaak_f32 vcc_lo, s0, s0, 0
// GFX13: s_fmaak_f32 vcc_lo, s0, s0, 0x0         ; encoding: [0x00,0x00,0xea,0xa2,0x00,0x00,0x00,0x00]

s_fmaak_f32 exec_lo, s0, s0, 0
// GFX13: s_fmaak_f32 exec_lo, s0, s0, 0x0        ; encoding: [0x00,0x00,0xfe,0xa2,0x00,0x00,0x00,0x00]

s_fmaak_f32 m0, s0, s0, 0
// GFX13: s_fmaak_f32 m0, s0, s0, 0x0             ; encoding: [0x00,0x00,0xfd,0xa2,0x00,0x00,0x00,0x00]

s_fmaak_f32 null, s0, s0, 0
// GFX13: s_fmaak_f32 null, s0, s0, 0x0           ; encoding: [0x00,0x00,0xfc,0xa2,0x00,0x00,0x00,0x00]

s_fmaak_f32 s0, s105, s0, 0
// GFX13: s_fmaak_f32 s0, s105, s0, 0x0           ; encoding: [0x69,0x00,0x80,0xa2,0x00,0x00,0x00,0x00]

s_fmaak_f32 s0, vcc_lo, s0, 0
// GFX13: s_fmaak_f32 s0, vcc_lo, s0, 0x0         ; encoding: [0x6a,0x00,0x80,0xa2,0x00,0x00,0x00,0x00]

s_fmaak_f32 s0, exec_lo, s0, 0
// GFX13: s_fmaak_f32 s0, exec_lo, s0, 0x0        ; encoding: [0x7e,0x00,0x80,0xa2,0x00,0x00,0x00,0x00]

s_fmaak_f32 s0, m0, s0, 0
// GFX13: s_fmaak_f32 s0, m0, s0, 0x0             ; encoding: [0x7d,0x00,0x80,0xa2,0x00,0x00,0x00,0x00]

s_fmaak_f32 s0, null, s0, 0
// GFX13: s_fmaak_f32 s0, null, s0, 0x0           ; encoding: [0x7c,0x00,0x80,0xa2,0x00,0x00,0x00,0x00]

s_fmaak_f32 s0, s0, s105, 0
// GFX13: s_fmaak_f32 s0, s0, s105, 0x0           ; encoding: [0x00,0x69,0x80,0xa2,0x00,0x00,0x00,0x00]

s_fmaak_f32 s0, s0, vcc_lo, 0
// GFX13: s_fmaak_f32 s0, s0, vcc_lo, 0x0         ; encoding: [0x00,0x6a,0x80,0xa2,0x00,0x00,0x00,0x00]

s_fmaak_f32 s0, s0, exec_lo, 0
// GFX13: s_fmaak_f32 s0, s0, exec_lo, 0x0        ; encoding: [0x00,0x7e,0x80,0xa2,0x00,0x00,0x00,0x00]

s_fmaak_f32 s0, s0, m0, 0
// GFX13: s_fmaak_f32 s0, s0, m0, 0x0             ; encoding: [0x00,0x7d,0x80,0xa2,0x00,0x00,0x00,0x00]

s_fmaak_f32 s0, s0, null, 0
// GFX13: s_fmaak_f32 s0, s0, null, 0x0           ; encoding: [0x00,0x7c,0x80,0xa2,0x00,0x00,0x00,0x00]

s_fmaak_f32 s0, s0, s0, 0x12345678
// GFX13: s_fmaak_f32 s0, s0, s0, 0x12345678      ; encoding: [0x00,0x00,0x80,0xa2,0x78,0x56,0x34,0x12]

s_fmamk_f32 s0, s0, 0, s0
// GFX13: s_fmamk_f32 s0, s0, 0x0, s0             ; encoding: [0x00,0x00,0x00,0xa3,0x00,0x00,0x00,0x00]

s_fmamk_f32 s105, s0, 0, s0
// GFX13: s_fmamk_f32 s105, s0, 0x0, s0           ; encoding: [0x00,0x00,0x69,0xa3,0x00,0x00,0x00,0x00]

s_fmamk_f32 vcc_lo, s0, 0, s0
// GFX13: s_fmamk_f32 vcc_lo, s0, 0x0, s0         ; encoding: [0x00,0x00,0x6a,0xa3,0x00,0x00,0x00,0x00]

s_fmamk_f32 exec_lo, s0, 0, s0
// GFX13: s_fmamk_f32 exec_lo, s0, 0x0, s0        ; encoding: [0x00,0x00,0x7e,0xa3,0x00,0x00,0x00,0x00]

s_fmamk_f32 m0, s0, 0, s0
// GFX13: s_fmamk_f32 m0, s0, 0x0, s0             ; encoding: [0x00,0x00,0x7d,0xa3,0x00,0x00,0x00,0x00]

s_fmamk_f32 null, s0, 0, s0
// GFX13: s_fmamk_f32 null, s0, 0x0, s0           ; encoding: [0x00,0x00,0x7c,0xa3,0x00,0x00,0x00,0x00]

s_fmamk_f32 s0, s105, 0, s0
// GFX13: s_fmamk_f32 s0, s105, 0x0, s0           ; encoding: [0x69,0x00,0x00,0xa3,0x00,0x00,0x00,0x00]

s_fmamk_f32 s0, vcc_lo, 0, s0
// GFX13: s_fmamk_f32 s0, vcc_lo, 0x0, s0         ; encoding: [0x6a,0x00,0x00,0xa3,0x00,0x00,0x00,0x00]

s_fmamk_f32 s0, exec_lo, 0, s0
// GFX13: s_fmamk_f32 s0, exec_lo, 0x0, s0        ; encoding: [0x7e,0x00,0x00,0xa3,0x00,0x00,0x00,0x00]

s_fmamk_f32 s0, m0, 0, s0
// GFX13: s_fmamk_f32 s0, m0, 0x0, s0             ; encoding: [0x7d,0x00,0x00,0xa3,0x00,0x00,0x00,0x00]

s_fmamk_f32 s0, null, 0, s0
// GFX13: s_fmamk_f32 s0, null, 0x0, s0           ; encoding: [0x7c,0x00,0x00,0xa3,0x00,0x00,0x00,0x00]

s_fmamk_f32 s0, s0, 0x12345678, s0
// GFX13: s_fmamk_f32 s0, s0, 0x12345678, s0      ; encoding: [0x00,0x00,0x00,0xa3,0x78,0x56,0x34,0x12]

s_fmamk_f32 s0, s0, 0, s105
// GFX13: s_fmamk_f32 s0, s0, 0x0, s105           ; encoding: [0x00,0x69,0x00,0xa3,0x00,0x00,0x00,0x00]

s_fmamk_f32 s0, s0, 0, vcc_lo
// GFX13: s_fmamk_f32 s0, s0, 0x0, vcc_lo         ; encoding: [0x00,0x6a,0x00,0xa3,0x00,0x00,0x00,0x00]

s_fmamk_f32 s0, s0, 0, exec_lo
// GFX13: s_fmamk_f32 s0, s0, 0x0, exec_lo        ; encoding: [0x00,0x7e,0x00,0xa3,0x00,0x00,0x00,0x00]

s_fmamk_f32 s0, s0, 0, m0
// GFX13: s_fmamk_f32 s0, s0, 0x0, m0             ; encoding: [0x00,0x7d,0x00,0xa3,0x00,0x00,0x00,0x00]

s_fmamk_f32 s0, s0, 0, null
// GFX13: s_fmamk_f32 s0, s0, 0x0, null           ; encoding: [0x00,0x7c,0x00,0xa3,0x00,0x00,0x00,0x00]

s_fmac_f32 s0, s0, s0
// GFX13: s_fmac_f32 s0, s0, s0                   ; encoding: [0x00,0x00,0x80,0xa3]

s_fmac_f32 s105, s0, s0
// GFX13: s_fmac_f32 s105, s0, s0                 ; encoding: [0x00,0x00,0xe9,0xa3]

s_fmac_f32 vcc_lo, s0, s0
// GFX13: s_fmac_f32 vcc_lo, s0, s0               ; encoding: [0x00,0x00,0xea,0xa3]

s_fmac_f32 exec_lo, s0, s0
// GFX13: s_fmac_f32 exec_lo, s0, s0              ; encoding: [0x00,0x00,0xfe,0xa3]

s_fmac_f32 m0, s0, s0
// GFX13: s_fmac_f32 m0, s0, s0                   ; encoding: [0x00,0x00,0xfd,0xa3]

s_fmac_f32 null, s0, s0
// GFX13: s_fmac_f32 null, s0, s0                 ; encoding: [0x00,0x00,0xfc,0xa3]

s_fmac_f32 s0, s105, s0
// GFX13: s_fmac_f32 s0, s105, s0                 ; encoding: [0x69,0x00,0x80,0xa3]

s_fmac_f32 s0, vcc_lo, s0
// GFX13: s_fmac_f32 s0, vcc_lo, s0               ; encoding: [0x6a,0x00,0x80,0xa3]

s_fmac_f32 s0, exec_lo, s0
// GFX13: s_fmac_f32 s0, exec_lo, s0              ; encoding: [0x7e,0x00,0x80,0xa3]

s_fmac_f32 s0, m0, s0
// GFX13: s_fmac_f32 s0, m0, s0                   ; encoding: [0x7d,0x00,0x80,0xa3]

s_fmac_f32 s0, null, s0
// GFX13: s_fmac_f32 s0, null, s0                 ; encoding: [0x7c,0x00,0x80,0xa3]

s_fmac_f32 s0, 0, s0
// GFX13: s_fmac_f32 s0, 0, s0                    ; encoding: [0x80,0x00,0x80,0xa3]

s_fmac_f32 s0, 0.5, s0
// GFX13: s_fmac_f32 s0, 0.5, s0                  ; encoding: [0xf0,0x00,0x80,0xa3]

s_fmac_f32 s0, 0x12345678, s0
// GFX13: s_fmac_f32 s0, 0x12345678, s0           ; encoding: [0xff,0x00,0x80,0xa3,0x78,0x56,0x34,0x12]

s_fmac_f32 s0, s0, s105
// GFX13: s_fmac_f32 s0, s0, s105                 ; encoding: [0x00,0x69,0x80,0xa3]

s_fmac_f32 s0, s0, vcc_lo
// GFX13: s_fmac_f32 s0, s0, vcc_lo               ; encoding: [0x00,0x6a,0x80,0xa3]

s_fmac_f32 s0, s0, exec_lo
// GFX13: s_fmac_f32 s0, s0, exec_lo              ; encoding: [0x00,0x7e,0x80,0xa3]

s_fmac_f32 s0, s0, m0
// GFX13: s_fmac_f32 s0, s0, m0                   ; encoding: [0x00,0x7d,0x80,0xa3]

s_fmac_f32 s0, s0, null
// GFX13: s_fmac_f32 s0, s0, null                 ; encoding: [0x00,0x7c,0x80,0xa3]

s_fmac_f32 s0, s0, 0
// GFX13: s_fmac_f32 s0, s0, 0                    ; encoding: [0x00,0x80,0x80,0xa3]

s_fmac_f32 s0, s0, 0.5
// GFX13: s_fmac_f32 s0, s0, 0.5                  ; encoding: [0x00,0xf0,0x80,0xa3]

s_fmac_f32 s0, s0, 0x12345678
// GFX13: s_fmac_f32 s0, s0, 0x12345678           ; encoding: [0x00,0xff,0x80,0xa3,0x78,0x56,0x34,0x12]

s_cvt_pk_rtz_f16_f32 s0, s0, s0
// GFX13: s_cvt_pk_rtz_f16_f32 s0, s0, s0         ; encoding: [0x00,0x00,0x00,0xa4]

s_cvt_pk_rtz_f16_f32 s105, s0, s0
// GFX13: s_cvt_pk_rtz_f16_f32 s105, s0, s0       ; encoding: [0x00,0x00,0x69,0xa4]

s_cvt_pk_rtz_f16_f32 vcc_lo, s0, s0
// GFX13: s_cvt_pk_rtz_f16_f32 vcc_lo, s0, s0     ; encoding: [0x00,0x00,0x6a,0xa4]

s_cvt_pk_rtz_f16_f32 exec_lo, s0, s0
// GFX13: s_cvt_pk_rtz_f16_f32 exec_lo, s0, s0    ; encoding: [0x00,0x00,0x7e,0xa4]

s_cvt_pk_rtz_f16_f32 m0, s0, s0
// GFX13: s_cvt_pk_rtz_f16_f32 m0, s0, s0         ; encoding: [0x00,0x00,0x7d,0xa4]

s_cvt_pk_rtz_f16_f32 null, s0, s0
// GFX13: s_cvt_pk_rtz_f16_f32 null, s0, s0       ; encoding: [0x00,0x00,0x7c,0xa4]

s_cvt_pk_rtz_f16_f32 s0, s105, s0
// GFX13: s_cvt_pk_rtz_f16_f32 s0, s105, s0       ; encoding: [0x69,0x00,0x00,0xa4]

s_cvt_pk_rtz_f16_f32 s0, vcc_lo, s0
// GFX13: s_cvt_pk_rtz_f16_f32 s0, vcc_lo, s0     ; encoding: [0x6a,0x00,0x00,0xa4]

s_cvt_pk_rtz_f16_f32 s0, exec_lo, s0
// GFX13: s_cvt_pk_rtz_f16_f32 s0, exec_lo, s0    ; encoding: [0x7e,0x00,0x00,0xa4]

s_cvt_pk_rtz_f16_f32 s0, m0, s0
// GFX13: s_cvt_pk_rtz_f16_f32 s0, m0, s0         ; encoding: [0x7d,0x00,0x00,0xa4]

s_cvt_pk_rtz_f16_f32 s0, null, s0
// GFX13: s_cvt_pk_rtz_f16_f32 s0, null, s0       ; encoding: [0x7c,0x00,0x00,0xa4]

s_cvt_pk_rtz_f16_f32 s0, 0, s0
// GFX13: s_cvt_pk_rtz_f16_f32 s0, 0, s0          ; encoding: [0x80,0x00,0x00,0xa4]

s_cvt_pk_rtz_f16_f32 s0, 0.5, s0
// GFX13: s_cvt_pk_rtz_f16_f32 s0, 0.5, s0        ; encoding: [0xf0,0x00,0x00,0xa4]

s_cvt_pk_rtz_f16_f32 s0, 0x12345678, s0
// GFX13: s_cvt_pk_rtz_f16_f32 s0, 0x12345678, s0 ; encoding: [0xff,0x00,0x00,0xa4,0x78,0x56,0x34,0x12]

s_cvt_pk_rtz_f16_f32 s0, s0, s105
// GFX13: s_cvt_pk_rtz_f16_f32 s0, s0, s105       ; encoding: [0x00,0x69,0x00,0xa4]

s_cvt_pk_rtz_f16_f32 s0, s0, vcc_lo
// GFX13: s_cvt_pk_rtz_f16_f32 s0, s0, vcc_lo     ; encoding: [0x00,0x6a,0x00,0xa4]

s_cvt_pk_rtz_f16_f32 s0, s0, exec_lo
// GFX13: s_cvt_pk_rtz_f16_f32 s0, s0, exec_lo    ; encoding: [0x00,0x7e,0x00,0xa4]

s_cvt_pk_rtz_f16_f32 s0, s0, m0
// GFX13: s_cvt_pk_rtz_f16_f32 s0, s0, m0         ; encoding: [0x00,0x7d,0x00,0xa4]

s_cvt_pk_rtz_f16_f32 s0, s0, null
// GFX13: s_cvt_pk_rtz_f16_f32 s0, s0, null       ; encoding: [0x00,0x7c,0x00,0xa4]

s_cvt_pk_rtz_f16_f32 s0, s0, 0
// GFX13: s_cvt_pk_rtz_f16_f32 s0, s0, 0          ; encoding: [0x00,0x80,0x00,0xa4]

s_cvt_pk_rtz_f16_f32 s0, s0, 0.5
// GFX13: s_cvt_pk_rtz_f16_f32 s0, s0, 0.5        ; encoding: [0x00,0xf0,0x00,0xa4]

s_cvt_pk_rtz_f16_f32 s0, s0, 0x12345678
// GFX13: s_cvt_pk_rtz_f16_f32 s0, s0, 0x12345678 ; encoding: [0x00,0xff,0x00,0xa4,0x78,0x56,0x34,0x12]

s_add_f16 s0, s0, s0
// GFX13: s_add_f16 s0, s0, s0                    ; encoding: [0x00,0x00,0x80,0xa4]

s_add_f16 s105, s0, s0
// GFX13: s_add_f16 s105, s0, s0                  ; encoding: [0x00,0x00,0xe9,0xa4]

s_add_f16 vcc_lo, s0, s0
// GFX13: s_add_f16 vcc_lo, s0, s0                ; encoding: [0x00,0x00,0xea,0xa4]

s_add_f16 exec_lo, s0, s0
// GFX13: s_add_f16 exec_lo, s0, s0               ; encoding: [0x00,0x00,0xfe,0xa4]

s_add_f16 m0, s0, s0
// GFX13: s_add_f16 m0, s0, s0                    ; encoding: [0x00,0x00,0xfd,0xa4]

s_add_f16 null, s0, s0
// GFX13: s_add_f16 null, s0, s0                  ; encoding: [0x00,0x00,0xfc,0xa4]

s_add_f16 s0, s105, s0
// GFX13: s_add_f16 s0, s105, s0                  ; encoding: [0x69,0x00,0x80,0xa4]

s_add_f16 s0, vcc_lo, s0
// GFX13: s_add_f16 s0, vcc_lo, s0                ; encoding: [0x6a,0x00,0x80,0xa4]

s_add_f16 s0, exec_lo, s0
// GFX13: s_add_f16 s0, exec_lo, s0               ; encoding: [0x7e,0x00,0x80,0xa4]

s_add_f16 s0, m0, s0
// GFX13: s_add_f16 s0, m0, s0                    ; encoding: [0x7d,0x00,0x80,0xa4]

s_add_f16 s0, null, s0
// GFX13: s_add_f16 s0, null, s0                  ; encoding: [0x7c,0x00,0x80,0xa4]

s_add_f16 s0, 0, s0
// GFX13: s_add_f16 s0, 0, s0                     ; encoding: [0x80,0x00,0x80,0xa4]

s_add_f16 s0, 0.5, s0
// GFX13: s_add_f16 s0, 0.5, s0                   ; encoding: [0xf0,0x00,0x80,0xa4]

s_add_f16 s0, 0x1234, s0
// GFX13: s_add_f16 s0, 0x1234, s0                ; encoding: [0xff,0x00,0x80,0xa4,0x34,0x12,0x00,0x00]

s_add_f16 s0, s0, s105
// GFX13: s_add_f16 s0, s0, s105                  ; encoding: [0x00,0x69,0x80,0xa4]

s_add_f16 s0, s0, vcc_lo
// GFX13: s_add_f16 s0, s0, vcc_lo                ; encoding: [0x00,0x6a,0x80,0xa4]

s_add_f16 s0, s0, exec_lo
// GFX13: s_add_f16 s0, s0, exec_lo               ; encoding: [0x00,0x7e,0x80,0xa4]

s_add_f16 s0, s0, m0
// GFX13: s_add_f16 s0, s0, m0                    ; encoding: [0x00,0x7d,0x80,0xa4]

s_add_f16 s0, s0, null
// GFX13: s_add_f16 s0, s0, null                  ; encoding: [0x00,0x7c,0x80,0xa4]

s_add_f16 s0, s0, 0
// GFX13: s_add_f16 s0, s0, 0                     ; encoding: [0x00,0x80,0x80,0xa4]

s_add_f16 s0, s0, 0.5
// GFX13: s_add_f16 s0, s0, 0.5                   ; encoding: [0x00,0xf0,0x80,0xa4]

s_add_f16 s0, s0, 0x1234
// GFX13: s_add_f16 s0, s0, 0x1234                ; encoding: [0x00,0xff,0x80,0xa4,0x34,0x12,0x00,0x00]

s_sub_f16 s0, s0, s0
// GFX13: s_sub_f16 s0, s0, s0                    ; encoding: [0x00,0x00,0x00,0xa5]

s_sub_f16 s105, s0, s0
// GFX13: s_sub_f16 s105, s0, s0                  ; encoding: [0x00,0x00,0x69,0xa5]

s_sub_f16 vcc_lo, s0, s0
// GFX13: s_sub_f16 vcc_lo, s0, s0                ; encoding: [0x00,0x00,0x6a,0xa5]

s_sub_f16 exec_lo, s0, s0
// GFX13: s_sub_f16 exec_lo, s0, s0               ; encoding: [0x00,0x00,0x7e,0xa5]

s_sub_f16 m0, s0, s0
// GFX13: s_sub_f16 m0, s0, s0                    ; encoding: [0x00,0x00,0x7d,0xa5]

s_sub_f16 null, s0, s0
// GFX13: s_sub_f16 null, s0, s0                  ; encoding: [0x00,0x00,0x7c,0xa5]

s_sub_f16 s0, s105, s0
// GFX13: s_sub_f16 s0, s105, s0                  ; encoding: [0x69,0x00,0x00,0xa5]

s_sub_f16 s0, vcc_lo, s0
// GFX13: s_sub_f16 s0, vcc_lo, s0                ; encoding: [0x6a,0x00,0x00,0xa5]

s_sub_f16 s0, exec_lo, s0
// GFX13: s_sub_f16 s0, exec_lo, s0               ; encoding: [0x7e,0x00,0x00,0xa5]

s_sub_f16 s0, m0, s0
// GFX13: s_sub_f16 s0, m0, s0                    ; encoding: [0x7d,0x00,0x00,0xa5]

s_sub_f16 s0, null, s0
// GFX13: s_sub_f16 s0, null, s0                  ; encoding: [0x7c,0x00,0x00,0xa5]

s_sub_f16 s0, 0, s0
// GFX13: s_sub_f16 s0, 0, s0                     ; encoding: [0x80,0x00,0x00,0xa5]

s_sub_f16 s0, 0.5, s0
// GFX13: s_sub_f16 s0, 0.5, s0                   ; encoding: [0xf0,0x00,0x00,0xa5]

s_sub_f16 s0, 0x1234, s0
// GFX13: s_sub_f16 s0, 0x1234, s0                ; encoding: [0xff,0x00,0x00,0xa5,0x34,0x12,0x00,0x00]

s_sub_f16 s0, s0, s105
// GFX13: s_sub_f16 s0, s0, s105                  ; encoding: [0x00,0x69,0x00,0xa5]

s_sub_f16 s0, s0, vcc_lo
// GFX13: s_sub_f16 s0, s0, vcc_lo                ; encoding: [0x00,0x6a,0x00,0xa5]

s_sub_f16 s0, s0, exec_lo
// GFX13: s_sub_f16 s0, s0, exec_lo               ; encoding: [0x00,0x7e,0x00,0xa5]

s_sub_f16 s0, s0, m0
// GFX13: s_sub_f16 s0, s0, m0                    ; encoding: [0x00,0x7d,0x00,0xa5]

s_sub_f16 s0, s0, null
// GFX13: s_sub_f16 s0, s0, null                  ; encoding: [0x00,0x7c,0x00,0xa5]

s_sub_f16 s0, s0, 0
// GFX13: s_sub_f16 s0, s0, 0                     ; encoding: [0x00,0x80,0x00,0xa5]

s_sub_f16 s0, s0, 0.5
// GFX13: s_sub_f16 s0, s0, 0.5                   ; encoding: [0x00,0xf0,0x00,0xa5]

s_sub_f16 s0, s0, 0x1234
// GFX13: s_sub_f16 s0, s0, 0x1234                ; encoding: [0x00,0xff,0x00,0xa5,0x34,0x12,0x00,0x00]

s_min_num_f16 s0, s0, s0
// GFX13: s_min_num_f16 s0, s0, s0                ; encoding: [0x00,0x00,0x80,0xa5]

s_min_num_f16 s105, s0, s0
// GFX13: s_min_num_f16 s105, s0, s0              ; encoding: [0x00,0x00,0xe9,0xa5]

s_min_num_f16 vcc_lo, s0, s0
// GFX13: s_min_num_f16 vcc_lo, s0, s0            ; encoding: [0x00,0x00,0xea,0xa5]

s_min_num_f16 exec_lo, s0, s0
// GFX13: s_min_num_f16 exec_lo, s0, s0           ; encoding: [0x00,0x00,0xfe,0xa5]

s_min_num_f16 m0, s0, s0
// GFX13: s_min_num_f16 m0, s0, s0                ; encoding: [0x00,0x00,0xfd,0xa5]

s_min_num_f16 null, s0, s0
// GFX13: s_min_num_f16 null, s0, s0              ; encoding: [0x00,0x00,0xfc,0xa5]

s_min_num_f16 s0, s105, s0
// GFX13: s_min_num_f16 s0, s105, s0              ; encoding: [0x69,0x00,0x80,0xa5]

s_min_num_f16 s0, vcc_lo, s0
// GFX13: s_min_num_f16 s0, vcc_lo, s0            ; encoding: [0x6a,0x00,0x80,0xa5]

s_min_num_f16 s0, exec_lo, s0
// GFX13: s_min_num_f16 s0, exec_lo, s0           ; encoding: [0x7e,0x00,0x80,0xa5]

s_min_num_f16 s0, m0, s0
// GFX13: s_min_num_f16 s0, m0, s0                ; encoding: [0x7d,0x00,0x80,0xa5]

s_min_num_f16 s0, null, s0
// GFX13: s_min_num_f16 s0, null, s0              ; encoding: [0x7c,0x00,0x80,0xa5]

s_min_num_f16 s0, 0, s0
// GFX13: s_min_num_f16 s0, 0, s0                 ; encoding: [0x80,0x00,0x80,0xa5]

s_min_num_f16 s0, 0.5, s0
// GFX13: s_min_num_f16 s0, 0.5, s0               ; encoding: [0xf0,0x00,0x80,0xa5]

s_min_num_f16 s0, 0x1234, s0
// GFX13: s_min_num_f16 s0, 0x1234, s0            ; encoding: [0xff,0x00,0x80,0xa5,0x34,0x12,0x00,0x00]

s_min_num_f16 s0, s0, s105
// GFX13: s_min_num_f16 s0, s0, s105              ; encoding: [0x00,0x69,0x80,0xa5]

s_min_num_f16 s0, s0, vcc_lo
// GFX13: s_min_num_f16 s0, s0, vcc_lo            ; encoding: [0x00,0x6a,0x80,0xa5]

s_min_num_f16 s0, s0, exec_lo
// GFX13: s_min_num_f16 s0, s0, exec_lo           ; encoding: [0x00,0x7e,0x80,0xa5]

s_min_num_f16 s0, s0, m0
// GFX13: s_min_num_f16 s0, s0, m0                ; encoding: [0x00,0x7d,0x80,0xa5]

s_min_num_f16 s0, s0, null
// GFX13: s_min_num_f16 s0, s0, null              ; encoding: [0x00,0x7c,0x80,0xa5]

s_min_num_f16 s0, s0, 0
// GFX13: s_min_num_f16 s0, s0, 0                 ; encoding: [0x00,0x80,0x80,0xa5]

s_min_num_f16 s0, s0, 0.5
// GFX13: s_min_num_f16 s0, s0, 0.5               ; encoding: [0x00,0xf0,0x80,0xa5]

s_min_num_f16 s0, s0, 0x1234
// GFX13: s_min_num_f16 s0, s0, 0x1234            ; encoding: [0x00,0xff,0x80,0xa5,0x34,0x12,0x00,0x00]

s_max_num_f16 s0, s0, s0
// GFX13: s_max_num_f16 s0, s0, s0                ; encoding: [0x00,0x00,0x00,0xa6]

s_max_num_f16 s105, s0, s0
// GFX13: s_max_num_f16 s105, s0, s0              ; encoding: [0x00,0x00,0x69,0xa6]

s_max_num_f16 vcc_lo, s0, s0
// GFX13: s_max_num_f16 vcc_lo, s0, s0            ; encoding: [0x00,0x00,0x6a,0xa6]

s_max_num_f16 exec_lo, s0, s0
// GFX13: s_max_num_f16 exec_lo, s0, s0           ; encoding: [0x00,0x00,0x7e,0xa6]

s_max_num_f16 m0, s0, s0
// GFX13: s_max_num_f16 m0, s0, s0                ; encoding: [0x00,0x00,0x7d,0xa6]

s_max_num_f16 null, s0, s0
// GFX13: s_max_num_f16 null, s0, s0              ; encoding: [0x00,0x00,0x7c,0xa6]

s_max_num_f16 s0, s105, s0
// GFX13: s_max_num_f16 s0, s105, s0              ; encoding: [0x69,0x00,0x00,0xa6]

s_max_num_f16 s0, vcc_lo, s0
// GFX13: s_max_num_f16 s0, vcc_lo, s0            ; encoding: [0x6a,0x00,0x00,0xa6]

s_max_num_f16 s0, exec_lo, s0
// GFX13: s_max_num_f16 s0, exec_lo, s0           ; encoding: [0x7e,0x00,0x00,0xa6]

s_max_num_f16 s0, m0, s0
// GFX13: s_max_num_f16 s0, m0, s0                ; encoding: [0x7d,0x00,0x00,0xa6]

s_max_num_f16 s0, null, s0
// GFX13: s_max_num_f16 s0, null, s0              ; encoding: [0x7c,0x00,0x00,0xa6]

s_max_num_f16 s0, 0, s0
// GFX13: s_max_num_f16 s0, 0, s0                 ; encoding: [0x80,0x00,0x00,0xa6]

s_max_num_f16 s0, 0.5, s0
// GFX13: s_max_num_f16 s0, 0.5, s0               ; encoding: [0xf0,0x00,0x00,0xa6]

s_max_num_f16 s0, 0x1234, s0
// GFX13: s_max_num_f16 s0, 0x1234, s0            ; encoding: [0xff,0x00,0x00,0xa6,0x34,0x12,0x00,0x00]

s_max_num_f16 s0, s0, s105
// GFX13: s_max_num_f16 s0, s0, s105              ; encoding: [0x00,0x69,0x00,0xa6]

s_max_num_f16 s0, s0, vcc_lo
// GFX13: s_max_num_f16 s0, s0, vcc_lo            ; encoding: [0x00,0x6a,0x00,0xa6]

s_max_num_f16 s0, s0, exec_lo
// GFX13: s_max_num_f16 s0, s0, exec_lo           ; encoding: [0x00,0x7e,0x00,0xa6]

s_max_num_f16 s0, s0, m0
// GFX13: s_max_num_f16 s0, s0, m0                ; encoding: [0x00,0x7d,0x00,0xa6]

s_max_num_f16 s0, s0, null
// GFX13: s_max_num_f16 s0, s0, null              ; encoding: [0x00,0x7c,0x00,0xa6]

s_max_num_f16 s0, s0, 0
// GFX13: s_max_num_f16 s0, s0, 0                 ; encoding: [0x00,0x80,0x00,0xa6]

s_max_num_f16 s0, s0, 0.5
// GFX13: s_max_num_f16 s0, s0, 0.5               ; encoding: [0x00,0xf0,0x00,0xa6]

s_max_num_f16 s0, s0, 0x1234
// GFX13: s_max_num_f16 s0, s0, 0x1234            ; encoding: [0x00,0xff,0x00,0xa6,0x34,0x12,0x00,0x00]

s_mul_f16 s0, s0, s0
// GFX13: s_mul_f16 s0, s0, s0                    ; encoding: [0x00,0x00,0x80,0xa6]

s_mul_f16 s105, s0, s0
// GFX13: s_mul_f16 s105, s0, s0                  ; encoding: [0x00,0x00,0xe9,0xa6]

s_mul_f16 vcc_lo, s0, s0
// GFX13: s_mul_f16 vcc_lo, s0, s0                ; encoding: [0x00,0x00,0xea,0xa6]

s_mul_f16 exec_lo, s0, s0
// GFX13: s_mul_f16 exec_lo, s0, s0               ; encoding: [0x00,0x00,0xfe,0xa6]

s_mul_f16 m0, s0, s0
// GFX13: s_mul_f16 m0, s0, s0                    ; encoding: [0x00,0x00,0xfd,0xa6]

s_mul_f16 null, s0, s0
// GFX13: s_mul_f16 null, s0, s0                  ; encoding: [0x00,0x00,0xfc,0xa6]

s_mul_f16 s0, s105, s0
// GFX13: s_mul_f16 s0, s105, s0                  ; encoding: [0x69,0x00,0x80,0xa6]

s_mul_f16 s0, vcc_lo, s0
// GFX13: s_mul_f16 s0, vcc_lo, s0                ; encoding: [0x6a,0x00,0x80,0xa6]

s_mul_f16 s0, exec_lo, s0
// GFX13: s_mul_f16 s0, exec_lo, s0               ; encoding: [0x7e,0x00,0x80,0xa6]

s_mul_f16 s0, m0, s0
// GFX13: s_mul_f16 s0, m0, s0                    ; encoding: [0x7d,0x00,0x80,0xa6]

s_mul_f16 s0, null, s0
// GFX13: s_mul_f16 s0, null, s0                  ; encoding: [0x7c,0x00,0x80,0xa6]

s_mul_f16 s0, 0, s0
// GFX13: s_mul_f16 s0, 0, s0                     ; encoding: [0x80,0x00,0x80,0xa6]

s_mul_f16 s0, 0.5, s0
// GFX13: s_mul_f16 s0, 0.5, s0                   ; encoding: [0xf0,0x00,0x80,0xa6]

s_mul_f16 s0, 0x1234, s0
// GFX13: s_mul_f16 s0, 0x1234, s0                ; encoding: [0xff,0x00,0x80,0xa6,0x34,0x12,0x00,0x00]

s_mul_f16 s0, s0, s105
// GFX13: s_mul_f16 s0, s0, s105                  ; encoding: [0x00,0x69,0x80,0xa6]

s_mul_f16 s0, s0, vcc_lo
// GFX13: s_mul_f16 s0, s0, vcc_lo                ; encoding: [0x00,0x6a,0x80,0xa6]

s_mul_f16 s0, s0, exec_lo
// GFX13: s_mul_f16 s0, s0, exec_lo               ; encoding: [0x00,0x7e,0x80,0xa6]

s_mul_f16 s0, s0, m0
// GFX13: s_mul_f16 s0, s0, m0                    ; encoding: [0x00,0x7d,0x80,0xa6]

s_mul_f16 s0, s0, null
// GFX13: s_mul_f16 s0, s0, null                  ; encoding: [0x00,0x7c,0x80,0xa6]

s_mul_f16 s0, s0, 0
// GFX13: s_mul_f16 s0, s0, 0                     ; encoding: [0x00,0x80,0x80,0xa6]

s_mul_f16 s0, s0, 0.5
// GFX13: s_mul_f16 s0, s0, 0.5                   ; encoding: [0x00,0xf0,0x80,0xa6]

s_mul_f16 s0, s0, 0x1234
// GFX13: s_mul_f16 s0, s0, 0x1234                ; encoding: [0x00,0xff,0x80,0xa6,0x34,0x12,0x00,0x00]

s_fmac_f16 s0, s0, s0
// GFX13: s_fmac_f16 s0, s0, s0                   ; encoding: [0x00,0x00,0x00,0xa7]

s_fmac_f16 s105, s0, s0
// GFX13: s_fmac_f16 s105, s0, s0                 ; encoding: [0x00,0x00,0x69,0xa7]

s_fmac_f16 vcc_lo, s0, s0
// GFX13: s_fmac_f16 vcc_lo, s0, s0               ; encoding: [0x00,0x00,0x6a,0xa7]

s_fmac_f16 exec_lo, s0, s0
// GFX13: s_fmac_f16 exec_lo, s0, s0              ; encoding: [0x00,0x00,0x7e,0xa7]

s_fmac_f16 m0, s0, s0
// GFX13: s_fmac_f16 m0, s0, s0                   ; encoding: [0x00,0x00,0x7d,0xa7]

s_fmac_f16 null, s0, s0
// GFX13: s_fmac_f16 null, s0, s0                 ; encoding: [0x00,0x00,0x7c,0xa7]

s_fmac_f16 s0, s105, s0
// GFX13: s_fmac_f16 s0, s105, s0                 ; encoding: [0x69,0x00,0x00,0xa7]

s_fmac_f16 s0, vcc_lo, s0
// GFX13: s_fmac_f16 s0, vcc_lo, s0               ; encoding: [0x6a,0x00,0x00,0xa7]

s_fmac_f16 s0, exec_lo, s0
// GFX13: s_fmac_f16 s0, exec_lo, s0              ; encoding: [0x7e,0x00,0x00,0xa7]

s_fmac_f16 s0, m0, s0
// GFX13: s_fmac_f16 s0, m0, s0                   ; encoding: [0x7d,0x00,0x00,0xa7]

s_fmac_f16 s0, null, s0
// GFX13: s_fmac_f16 s0, null, s0                 ; encoding: [0x7c,0x00,0x00,0xa7]

s_fmac_f16 s0, 0, s0
// GFX13: s_fmac_f16 s0, 0, s0                    ; encoding: [0x80,0x00,0x00,0xa7]

s_fmac_f16 s0, 0.5, s0
// GFX13: s_fmac_f16 s0, 0.5, s0                  ; encoding: [0xf0,0x00,0x00,0xa7]

s_fmac_f16 s0, 0x1234, s0
// GFX13: s_fmac_f16 s0, 0x1234, s0               ; encoding: [0xff,0x00,0x00,0xa7,0x34,0x12,0x00,0x00]

s_fmac_f16 s0, s0, s105
// GFX13: s_fmac_f16 s0, s0, s105                 ; encoding: [0x00,0x69,0x00,0xa7]

s_fmac_f16 s0, s0, vcc_lo
// GFX13: s_fmac_f16 s0, s0, vcc_lo               ; encoding: [0x00,0x6a,0x00,0xa7]

s_fmac_f16 s0, s0, exec_lo
// GFX13: s_fmac_f16 s0, s0, exec_lo              ; encoding: [0x00,0x7e,0x00,0xa7]

s_fmac_f16 s0, s0, m0
// GFX13: s_fmac_f16 s0, s0, m0                   ; encoding: [0x00,0x7d,0x00,0xa7]

s_fmac_f16 s0, s0, null
// GFX13: s_fmac_f16 s0, s0, null                 ; encoding: [0x00,0x7c,0x00,0xa7]

s_fmac_f16 s0, s0, 0
// GFX13: s_fmac_f16 s0, s0, 0                    ; encoding: [0x00,0x80,0x00,0xa7]

s_fmac_f16 s0, s0, 0.5
// GFX13: s_fmac_f16 s0, s0, 0.5                  ; encoding: [0x00,0xf0,0x00,0xa7]

s_fmac_f16 s0, s0, 0x1234
// GFX13: s_fmac_f16 s0, s0, 0x1234               ; encoding: [0x00,0xff,0x00,0xa7,0x34,0x12,0x00,0x00]

s_minimum_f32 s0, s0, s0
// GFX13: s_minimum_f32 s0, s0, s0                ; encoding: [0x00,0x00,0x80,0xa7]

s_minimum_f32 s105, s0, s0
// GFX13: s_minimum_f32 s105, s0, s0              ; encoding: [0x00,0x00,0xe9,0xa7]

s_minimum_f32 vcc_lo, s0, s0
// GFX13: s_minimum_f32 vcc_lo, s0, s0            ; encoding: [0x00,0x00,0xea,0xa7]

s_minimum_f32 exec_lo, s0, s0
// GFX13: s_minimum_f32 exec_lo, s0, s0           ; encoding: [0x00,0x00,0xfe,0xa7]

s_minimum_f32 m0, s0, s0
// GFX13: s_minimum_f32 m0, s0, s0                ; encoding: [0x00,0x00,0xfd,0xa7]

s_minimum_f32 null, s0, s0
// GFX13: s_minimum_f32 null, s0, s0              ; encoding: [0x00,0x00,0xfc,0xa7]

s_minimum_f32 s0, s105, s0
// GFX13: s_minimum_f32 s0, s105, s0              ; encoding: [0x69,0x00,0x80,0xa7]

s_minimum_f32 s0, vcc_lo, s0
// GFX13: s_minimum_f32 s0, vcc_lo, s0            ; encoding: [0x6a,0x00,0x80,0xa7]

s_minimum_f32 s0, exec_lo, s0
// GFX13: s_minimum_f32 s0, exec_lo, s0           ; encoding: [0x7e,0x00,0x80,0xa7]

s_minimum_f32 s0, m0, s0
// GFX13: s_minimum_f32 s0, m0, s0                ; encoding: [0x7d,0x00,0x80,0xa7]

s_minimum_f32 s0, null, s0
// GFX13: s_minimum_f32 s0, null, s0              ; encoding: [0x7c,0x00,0x80,0xa7]

s_minimum_f32 s0, 0, s0
// GFX13: s_minimum_f32 s0, 0, s0                 ; encoding: [0x80,0x00,0x80,0xa7]

s_minimum_f32 s0, 0.5, s0
// GFX13: s_minimum_f32 s0, 0.5, s0               ; encoding: [0xf0,0x00,0x80,0xa7]

s_minimum_f32 s0, 0x12345678, s0
// GFX13: s_minimum_f32 s0, 0x12345678, s0        ; encoding: [0xff,0x00,0x80,0xa7,0x78,0x56,0x34,0x12]

s_minimum_f32 s0, s0, s105
// GFX13: s_minimum_f32 s0, s0, s105              ; encoding: [0x00,0x69,0x80,0xa7]

s_minimum_f32 s0, s0, vcc_lo
// GFX13: s_minimum_f32 s0, s0, vcc_lo            ; encoding: [0x00,0x6a,0x80,0xa7]

s_minimum_f32 s0, s0, exec_lo
// GFX13: s_minimum_f32 s0, s0, exec_lo           ; encoding: [0x00,0x7e,0x80,0xa7]

s_minimum_f32 s0, s0, m0
// GFX13: s_minimum_f32 s0, s0, m0                ; encoding: [0x00,0x7d,0x80,0xa7]

s_minimum_f32 s0, s0, null
// GFX13: s_minimum_f32 s0, s0, null              ; encoding: [0x00,0x7c,0x80,0xa7]

s_minimum_f32 s0, s0, 0
// GFX13: s_minimum_f32 s0, s0, 0                 ; encoding: [0x00,0x80,0x80,0xa7]

s_minimum_f32 s0, s0, 0.5
// GFX13: s_minimum_f32 s0, s0, 0.5               ; encoding: [0x00,0xf0,0x80,0xa7]

s_minimum_f32 s0, s0, 0x12345678
// GFX13: s_minimum_f32 s0, s0, 0x12345678        ; encoding: [0x00,0xff,0x80,0xa7,0x78,0x56,0x34,0x12]

s_maximum_f32 s0, s0, s0
// GFX13: s_maximum_f32 s0, s0, s0                ; encoding: [0x00,0x00,0x00,0xa8]

s_maximum_f32 s105, s0, s0
// GFX13: s_maximum_f32 s105, s0, s0              ; encoding: [0x00,0x00,0x69,0xa8]

s_maximum_f32 vcc_lo, s0, s0
// GFX13: s_maximum_f32 vcc_lo, s0, s0            ; encoding: [0x00,0x00,0x6a,0xa8]

s_maximum_f32 exec_lo, s0, s0
// GFX13: s_maximum_f32 exec_lo, s0, s0           ; encoding: [0x00,0x00,0x7e,0xa8]

s_maximum_f32 m0, s0, s0
// GFX13: s_maximum_f32 m0, s0, s0                ; encoding: [0x00,0x00,0x7d,0xa8]

s_maximum_f32 null, s0, s0
// GFX13: s_maximum_f32 null, s0, s0              ; encoding: [0x00,0x00,0x7c,0xa8]

s_maximum_f32 s0, s105, s0
// GFX13: s_maximum_f32 s0, s105, s0              ; encoding: [0x69,0x00,0x00,0xa8]

s_maximum_f32 s0, vcc_lo, s0
// GFX13: s_maximum_f32 s0, vcc_lo, s0            ; encoding: [0x6a,0x00,0x00,0xa8]

s_maximum_f32 s0, exec_lo, s0
// GFX13: s_maximum_f32 s0, exec_lo, s0           ; encoding: [0x7e,0x00,0x00,0xa8]

s_maximum_f32 s0, m0, s0
// GFX13: s_maximum_f32 s0, m0, s0                ; encoding: [0x7d,0x00,0x00,0xa8]

s_maximum_f32 s0, null, s0
// GFX13: s_maximum_f32 s0, null, s0              ; encoding: [0x7c,0x00,0x00,0xa8]

s_maximum_f32 s0, 0, s0
// GFX13: s_maximum_f32 s0, 0, s0                 ; encoding: [0x80,0x00,0x00,0xa8]

s_maximum_f32 s0, 0.5, s0
// GFX13: s_maximum_f32 s0, 0.5, s0               ; encoding: [0xf0,0x00,0x00,0xa8]

s_maximum_f32 s0, 0x12345678, s0
// GFX13: s_maximum_f32 s0, 0x12345678, s0        ; encoding: [0xff,0x00,0x00,0xa8,0x78,0x56,0x34,0x12]

s_maximum_f32 s0, s0, s105
// GFX13: s_maximum_f32 s0, s0, s105              ; encoding: [0x00,0x69,0x00,0xa8]

s_maximum_f32 s0, s0, vcc_lo
// GFX13: s_maximum_f32 s0, s0, vcc_lo            ; encoding: [0x00,0x6a,0x00,0xa8]

s_maximum_f32 s0, s0, exec_lo
// GFX13: s_maximum_f32 s0, s0, exec_lo           ; encoding: [0x00,0x7e,0x00,0xa8]

s_maximum_f32 s0, s0, m0
// GFX13: s_maximum_f32 s0, s0, m0                ; encoding: [0x00,0x7d,0x00,0xa8]

s_maximum_f32 s0, s0, null
// GFX13: s_maximum_f32 s0, s0, null              ; encoding: [0x00,0x7c,0x00,0xa8]

s_maximum_f32 s0, s0, 0
// GFX13: s_maximum_f32 s0, s0, 0                 ; encoding: [0x00,0x80,0x00,0xa8]

s_maximum_f32 s0, s0, 0.5
// GFX13: s_maximum_f32 s0, s0, 0.5               ; encoding: [0x00,0xf0,0x00,0xa8]

s_maximum_f32 s0, s0, 0x12345678
// GFX13: s_maximum_f32 s0, s0, 0x12345678        ; encoding: [0x00,0xff,0x00,0xa8,0x78,0x56,0x34,0x12]

s_minimum_f16 s0, s0, s0
// GFX13: s_minimum_f16 s0, s0, s0                ; encoding: [0x00,0x00,0x80,0xa8]

s_minimum_f16 s105, s0, s0
// GFX13: s_minimum_f16 s105, s0, s0              ; encoding: [0x00,0x00,0xe9,0xa8]

s_minimum_f16 vcc_lo, s0, s0
// GFX13: s_minimum_f16 vcc_lo, s0, s0            ; encoding: [0x00,0x00,0xea,0xa8]

s_minimum_f16 exec_lo, s0, s0
// GFX13: s_minimum_f16 exec_lo, s0, s0           ; encoding: [0x00,0x00,0xfe,0xa8]

s_minimum_f16 m0, s0, s0
// GFX13: s_minimum_f16 m0, s0, s0                ; encoding: [0x00,0x00,0xfd,0xa8]

s_minimum_f16 null, s0, s0
// GFX13: s_minimum_f16 null, s0, s0              ; encoding: [0x00,0x00,0xfc,0xa8]

s_minimum_f16 s0, s105, s0
// GFX13: s_minimum_f16 s0, s105, s0              ; encoding: [0x69,0x00,0x80,0xa8]

s_minimum_f16 s0, vcc_lo, s0
// GFX13: s_minimum_f16 s0, vcc_lo, s0            ; encoding: [0x6a,0x00,0x80,0xa8]

s_minimum_f16 s0, exec_lo, s0
// GFX13: s_minimum_f16 s0, exec_lo, s0           ; encoding: [0x7e,0x00,0x80,0xa8]

s_minimum_f16 s0, m0, s0
// GFX13: s_minimum_f16 s0, m0, s0                ; encoding: [0x7d,0x00,0x80,0xa8]

s_minimum_f16 s0, null, s0
// GFX13: s_minimum_f16 s0, null, s0              ; encoding: [0x7c,0x00,0x80,0xa8]

s_minimum_f16 s0, 0, s0
// GFX13: s_minimum_f16 s0, 0, s0                 ; encoding: [0x80,0x00,0x80,0xa8]

s_minimum_f16 s0, 0.5, s0
// GFX13: s_minimum_f16 s0, 0.5, s0               ; encoding: [0xf0,0x00,0x80,0xa8]

s_minimum_f16 s0, 0x1234, s0
// GFX13: s_minimum_f16 s0, 0x1234, s0            ; encoding: [0xff,0x00,0x80,0xa8,0x34,0x12,0x00,0x00]

s_minimum_f16 s0, s0, s105
// GFX13: s_minimum_f16 s0, s0, s105              ; encoding: [0x00,0x69,0x80,0xa8]

s_minimum_f16 s0, s0, vcc_lo
// GFX13: s_minimum_f16 s0, s0, vcc_lo            ; encoding: [0x00,0x6a,0x80,0xa8]

s_minimum_f16 s0, s0, exec_lo
// GFX13: s_minimum_f16 s0, s0, exec_lo           ; encoding: [0x00,0x7e,0x80,0xa8]

s_minimum_f16 s0, s0, m0
// GFX13: s_minimum_f16 s0, s0, m0                ; encoding: [0x00,0x7d,0x80,0xa8]

s_minimum_f16 s0, s0, null
// GFX13: s_minimum_f16 s0, s0, null              ; encoding: [0x00,0x7c,0x80,0xa8]

s_minimum_f16 s0, s0, 0
// GFX13: s_minimum_f16 s0, s0, 0                 ; encoding: [0x00,0x80,0x80,0xa8]

s_minimum_f16 s0, s0, 0.5
// GFX13: s_minimum_f16 s0, s0, 0.5               ; encoding: [0x00,0xf0,0x80,0xa8]

s_minimum_f16 s0, s0, 0x1234
// GFX13: s_minimum_f16 s0, s0, 0x1234            ; encoding: [0x00,0xff,0x80,0xa8,0x34,0x12,0x00,0x00]

s_maximum_f16 s0, s0, s0
// GFX13: s_maximum_f16 s0, s0, s0                ; encoding: [0x00,0x00,0x00,0xa9]

s_maximum_f16 s105, s0, s0
// GFX13: s_maximum_f16 s105, s0, s0              ; encoding: [0x00,0x00,0x69,0xa9]

s_maximum_f16 vcc_lo, s0, s0
// GFX13: s_maximum_f16 vcc_lo, s0, s0            ; encoding: [0x00,0x00,0x6a,0xa9]

s_maximum_f16 exec_lo, s0, s0
// GFX13: s_maximum_f16 exec_lo, s0, s0           ; encoding: [0x00,0x00,0x7e,0xa9]

s_maximum_f16 m0, s0, s0
// GFX13: s_maximum_f16 m0, s0, s0                ; encoding: [0x00,0x00,0x7d,0xa9]

s_maximum_f16 null, s0, s0
// GFX13: s_maximum_f16 null, s0, s0              ; encoding: [0x00,0x00,0x7c,0xa9]

s_maximum_f16 s0, s105, s0
// GFX13: s_maximum_f16 s0, s105, s0              ; encoding: [0x69,0x00,0x00,0xa9]

s_maximum_f16 s0, vcc_lo, s0
// GFX13: s_maximum_f16 s0, vcc_lo, s0            ; encoding: [0x6a,0x00,0x00,0xa9]

s_maximum_f16 s0, exec_lo, s0
// GFX13: s_maximum_f16 s0, exec_lo, s0           ; encoding: [0x7e,0x00,0x00,0xa9]

s_maximum_f16 s0, m0, s0
// GFX13: s_maximum_f16 s0, m0, s0                ; encoding: [0x7d,0x00,0x00,0xa9]

s_maximum_f16 s0, null, s0
// GFX13: s_maximum_f16 s0, null, s0              ; encoding: [0x7c,0x00,0x00,0xa9]

s_maximum_f16 s0, 0, s0
// GFX13: s_maximum_f16 s0, 0, s0                 ; encoding: [0x80,0x00,0x00,0xa9]

s_maximum_f16 s0, 0.5, s0
// GFX13: s_maximum_f16 s0, 0.5, s0               ; encoding: [0xf0,0x00,0x00,0xa9]

s_maximum_f16 s0, 0x1234, s0
// GFX13: s_maximum_f16 s0, 0x1234, s0            ; encoding: [0xff,0x00,0x00,0xa9,0x34,0x12,0x00,0x00]

s_maximum_f16 s0, s0, s105
// GFX13: s_maximum_f16 s0, s0, s105              ; encoding: [0x00,0x69,0x00,0xa9]

s_maximum_f16 s0, s0, vcc_lo
// GFX13: s_maximum_f16 s0, s0, vcc_lo            ; encoding: [0x00,0x6a,0x00,0xa9]

s_maximum_f16 s0, s0, exec_lo
// GFX13: s_maximum_f16 s0, s0, exec_lo           ; encoding: [0x00,0x7e,0x00,0xa9]

s_maximum_f16 s0, s0, m0
// GFX13: s_maximum_f16 s0, s0, m0                ; encoding: [0x00,0x7d,0x00,0xa9]

s_maximum_f16 s0, s0, null
// GFX13: s_maximum_f16 s0, s0, null              ; encoding: [0x00,0x7c,0x00,0xa9]

s_maximum_f16 s0, s0, 0
// GFX13: s_maximum_f16 s0, s0, 0                 ; encoding: [0x00,0x80,0x00,0xa9]

s_maximum_f16 s0, s0, 0.5
// GFX13: s_maximum_f16 s0, s0, 0.5               ; encoding: [0x00,0xf0,0x00,0xa9]

s_maximum_f16 s0, s0, 0x1234
// GFX13: s_maximum_f16 s0, s0, 0x1234            ; encoding: [0x00,0xff,0x00,0xa9,0x34,0x12,0x00,0x00]

s_add_nc_u64 s[0:1], s[0:1], s[0:1]
// GFX13: s_add_nc_u64 s[0:1], s[0:1], s[0:1]     ; encoding: [0x00,0x00,0x80,0xa9]

s_add_nc_u64 s[104:105], s[0:1], s[0:1]
// GFX13: s_add_nc_u64 s[104:105], s[0:1], s[0:1] ; encoding: [0x00,0x00,0xe8,0xa9]

s_add_nc_u64 vcc, s[0:1], s[0:1]
// GFX13: s_add_nc_u64 vcc, s[0:1], s[0:1]        ; encoding: [0x00,0x00,0xea,0xa9]

s_add_nc_u64 exec, s[0:1], s[0:1]
// GFX13: s_add_nc_u64 exec, s[0:1], s[0:1]       ; encoding: [0x00,0x00,0xfe,0xa9]

s_add_nc_u64 null, s[0:1], s[0:1]
// GFX13: s_add_nc_u64 null, s[0:1], s[0:1]       ; encoding: [0x00,0x00,0xfc,0xa9]

s_add_nc_u64 s[0:1], s[104:105], s[0:1]
// GFX13: s_add_nc_u64 s[0:1], s[104:105], s[0:1] ; encoding: [0x68,0x00,0x80,0xa9]

s_add_nc_u64 s[0:1], vcc, s[0:1]
// GFX13: s_add_nc_u64 s[0:1], vcc, s[0:1]        ; encoding: [0x6a,0x00,0x80,0xa9]

s_add_nc_u64 s[0:1], exec, s[0:1]
// GFX13: s_add_nc_u64 s[0:1], exec, s[0:1]       ; encoding: [0x7e,0x00,0x80,0xa9]

s_add_nc_u64 s[0:1], null, s[0:1]
// GFX13: s_add_nc_u64 s[0:1], null, s[0:1]       ; encoding: [0x7c,0x00,0x80,0xa9]

s_add_nc_u64 s[0:1], 0, s[0:1]
// GFX13: s_add_nc_u64 s[0:1], 0, s[0:1]          ; encoding: [0x80,0x00,0x80,0xa9]

s_add_nc_u64 s[0:1], 0.5, s[0:1]
// GFX13: s_add_nc_u64 s[0:1], 0.5, s[0:1]        ; encoding: [0xf0,0x00,0x80,0xa9]

s_add_nc_u64 s[0:1], 0x123456789abcdef0, s[0:1]
// GFX13: s_add_nc_u64 s[0:1], 0x123456789abcdef0, s[0:1] ; encoding: [0xfe,0x00,0x80,0xa9,0xf0,0xde,0xbc,0x9a,0x78,0x56,0x34,0x12]

s_add_nc_u64 s[0:1], s[0:1], s[104:105]
// GFX13: s_add_nc_u64 s[0:1], s[0:1], s[104:105] ; encoding: [0x00,0x68,0x80,0xa9]

s_add_nc_u64 s[0:1], s[0:1], vcc
// GFX13: s_add_nc_u64 s[0:1], s[0:1], vcc        ; encoding: [0x00,0x6a,0x80,0xa9]

s_add_nc_u64 s[0:1], s[0:1], exec
// GFX13: s_add_nc_u64 s[0:1], s[0:1], exec       ; encoding: [0x00,0x7e,0x80,0xa9]

s_add_nc_u64 s[0:1], s[0:1], null
// GFX13: s_add_nc_u64 s[0:1], s[0:1], null       ; encoding: [0x00,0x7c,0x80,0xa9]

s_add_nc_u64 s[0:1], s[0:1], 0
// GFX13: s_add_nc_u64 s[0:1], s[0:1], 0          ; encoding: [0x00,0x80,0x80,0xa9]

s_add_nc_u64 s[0:1], s[0:1], 0.5
// GFX13: s_add_nc_u64 s[0:1], s[0:1], 0.5        ; encoding: [0x00,0xf0,0x80,0xa9]

s_add_nc_u64 s[0:1], s[0:1], 0x123456789abcdef0
// GFX13: s_add_nc_u64 s[0:1], s[0:1], 0x123456789abcdef0 ; encoding: [0x00,0xfe,0x80,0xa9,0xf0,0xde,0xbc,0x9a,0x78,0x56,0x34,0x12]

s_sub_nc_u64 s[0:1], s[0:1], s[0:1]
// GFX13: s_sub_nc_u64 s[0:1], s[0:1], s[0:1]     ; encoding: [0x00,0x00,0x00,0xaa]

s_sub_nc_u64 s[104:105], s[0:1], s[0:1]
// GFX13: s_sub_nc_u64 s[104:105], s[0:1], s[0:1] ; encoding: [0x00,0x00,0x68,0xaa]

s_sub_nc_u64 vcc, s[0:1], s[0:1]
// GFX13: s_sub_nc_u64 vcc, s[0:1], s[0:1]        ; encoding: [0x00,0x00,0x6a,0xaa]

s_sub_nc_u64 exec, s[0:1], s[0:1]
// GFX13: s_sub_nc_u64 exec, s[0:1], s[0:1]       ; encoding: [0x00,0x00,0x7e,0xaa]

s_sub_nc_u64 null, s[0:1], s[0:1]
// GFX13: s_sub_nc_u64 null, s[0:1], s[0:1]       ; encoding: [0x00,0x00,0x7c,0xaa]

s_sub_nc_u64 s[0:1], s[104:105], s[0:1]
// GFX13: s_sub_nc_u64 s[0:1], s[104:105], s[0:1] ; encoding: [0x68,0x00,0x00,0xaa]

s_sub_nc_u64 s[0:1], vcc, s[0:1]
// GFX13: s_sub_nc_u64 s[0:1], vcc, s[0:1]        ; encoding: [0x6a,0x00,0x00,0xaa]

s_sub_nc_u64 s[0:1], exec, s[0:1]
// GFX13: s_sub_nc_u64 s[0:1], exec, s[0:1]       ; encoding: [0x7e,0x00,0x00,0xaa]

s_sub_nc_u64 s[0:1], null, s[0:1]
// GFX13: s_sub_nc_u64 s[0:1], null, s[0:1]       ; encoding: [0x7c,0x00,0x00,0xaa]

s_sub_nc_u64 s[0:1], 0, s[0:1]
// GFX13: s_sub_nc_u64 s[0:1], 0, s[0:1]          ; encoding: [0x80,0x00,0x00,0xaa]

s_sub_nc_u64 s[0:1], 0.5, s[0:1]
// GFX13: s_sub_nc_u64 s[0:1], 0.5, s[0:1]        ; encoding: [0xf0,0x00,0x00,0xaa]

s_sub_nc_u64 s[0:1], 0x123456789abcdef0, s[0:1]
// GFX13: s_sub_nc_u64 s[0:1], 0x123456789abcdef0, s[0:1] ; encoding: [0xfe,0x00,0x00,0xaa,0xf0,0xde,0xbc,0x9a,0x78,0x56,0x34,0x12]

s_sub_nc_u64 s[0:1], s[0:1], s[104:105]
// GFX13: s_sub_nc_u64 s[0:1], s[0:1], s[104:105] ; encoding: [0x00,0x68,0x00,0xaa]

s_sub_nc_u64 s[0:1], s[0:1], vcc
// GFX13: s_sub_nc_u64 s[0:1], s[0:1], vcc        ; encoding: [0x00,0x6a,0x00,0xaa]

s_sub_nc_u64 s[0:1], s[0:1], exec
// GFX13: s_sub_nc_u64 s[0:1], s[0:1], exec       ; encoding: [0x00,0x7e,0x00,0xaa]

s_sub_nc_u64 s[0:1], s[0:1], null
// GFX13: s_sub_nc_u64 s[0:1], s[0:1], null       ; encoding: [0x00,0x7c,0x00,0xaa]

s_sub_nc_u64 s[0:1], s[0:1], 0
// GFX13: s_sub_nc_u64 s[0:1], s[0:1], 0          ; encoding: [0x00,0x80,0x00,0xaa]

s_sub_nc_u64 s[0:1], s[0:1], 0.5
// GFX13: s_sub_nc_u64 s[0:1], s[0:1], 0.5        ; encoding: [0x00,0xf0,0x00,0xaa]

s_sub_nc_u64 s[0:1], s[0:1], 0x123456789abcdef0
// GFX13: s_sub_nc_u64 s[0:1], s[0:1], 0x123456789abcdef0 ; encoding: [0x00,0xfe,0x00,0xaa,0xf0,0xde,0xbc,0x9a,0x78,0x56,0x34,0x12]

s_mul_u64 s[0:1], s[0:1], s[0:1]
// GFX13: s_mul_u64 s[0:1], s[0:1], s[0:1]        ; encoding: [0x00,0x00,0x80,0xaa]

s_mul_u64 s[104:105], s[0:1], s[0:1]
// GFX13: s_mul_u64 s[104:105], s[0:1], s[0:1]    ; encoding: [0x00,0x00,0xe8,0xaa]

s_mul_u64 vcc, s[0:1], s[0:1]
// GFX13: s_mul_u64 vcc, s[0:1], s[0:1]           ; encoding: [0x00,0x00,0xea,0xaa]

s_mul_u64 exec, s[0:1], s[0:1]
// GFX13: s_mul_u64 exec, s[0:1], s[0:1]          ; encoding: [0x00,0x00,0xfe,0xaa]

s_mul_u64 null, s[0:1], s[0:1]
// GFX13: s_mul_u64 null, s[0:1], s[0:1]          ; encoding: [0x00,0x00,0xfc,0xaa]

s_mul_u64 s[0:1], s[104:105], s[0:1]
// GFX13: s_mul_u64 s[0:1], s[104:105], s[0:1]    ; encoding: [0x68,0x00,0x80,0xaa]

s_mul_u64 s[0:1], vcc, s[0:1]
// GFX13: s_mul_u64 s[0:1], vcc, s[0:1]           ; encoding: [0x6a,0x00,0x80,0xaa]

s_mul_u64 s[0:1], exec, s[0:1]
// GFX13: s_mul_u64 s[0:1], exec, s[0:1]          ; encoding: [0x7e,0x00,0x80,0xaa]

s_mul_u64 s[0:1], null, s[0:1]
// GFX13: s_mul_u64 s[0:1], null, s[0:1]          ; encoding: [0x7c,0x00,0x80,0xaa]

s_mul_u64 s[0:1], 0, s[0:1]
// GFX13: s_mul_u64 s[0:1], 0, s[0:1]             ; encoding: [0x80,0x00,0x80,0xaa]

s_mul_u64 s[0:1], 0.5, s[0:1]
// GFX13: s_mul_u64 s[0:1], 0.5, s[0:1]           ; encoding: [0xf0,0x00,0x80,0xaa]

s_mul_u64 s[0:1], 0x123456789abcdef0, s[0:1]
// GFX13: s_mul_u64 s[0:1], 0x123456789abcdef0, s[0:1] ; encoding: [0xfe,0x00,0x80,0xaa,0xf0,0xde,0xbc,0x9a,0x78,0x56,0x34,0x12]

s_mul_u64 s[0:1], s[0:1], s[104:105]
// GFX13: s_mul_u64 s[0:1], s[0:1], s[104:105]    ; encoding: [0x00,0x68,0x80,0xaa]

s_mul_u64 s[0:1], s[0:1], vcc
// GFX13: s_mul_u64 s[0:1], s[0:1], vcc           ; encoding: [0x00,0x6a,0x80,0xaa]

s_mul_u64 s[0:1], s[0:1], exec
// GFX13: s_mul_u64 s[0:1], s[0:1], exec          ; encoding: [0x00,0x7e,0x80,0xaa]

s_mul_u64 s[0:1], s[0:1], null
// GFX13: s_mul_u64 s[0:1], s[0:1], null          ; encoding: [0x00,0x7c,0x80,0xaa]

s_mul_u64 s[0:1], s[0:1], 0
// GFX13: s_mul_u64 s[0:1], s[0:1], 0             ; encoding: [0x00,0x80,0x80,0xaa]

s_mul_u64 s[0:1], s[0:1], 0.5
// GFX13: s_mul_u64 s[0:1], s[0:1], 0.5           ; encoding: [0x00,0xf0,0x80,0xaa]

s_mul_u64 s[0:1], s[0:1], 0x123456789abcdef0
// GFX13: s_mul_u64 s[0:1], s[0:1], 0x123456789abcdef0 ; encoding: [0x00,0xfe,0x80,0xaa,0xf0,0xde,0xbc,0x9a,0x78,0x56,0x34,0x12]
